;; amdgpu-corpus repo=ROCm/rocFFT kind=compiled arch=gfx1201 opt=O3
	.text
	.amdgcn_target "amdgcn-amd-amdhsa--gfx1201"
	.amdhsa_code_object_version 6
	.protected	bluestein_single_fwd_len520_dim1_dp_op_CI_CI ; -- Begin function bluestein_single_fwd_len520_dim1_dp_op_CI_CI
	.globl	bluestein_single_fwd_len520_dim1_dp_op_CI_CI
	.p2align	8
	.type	bluestein_single_fwd_len520_dim1_dp_op_CI_CI,@function
bluestein_single_fwd_len520_dim1_dp_op_CI_CI: ; @bluestein_single_fwd_len520_dim1_dp_op_CI_CI
; %bb.0:
	s_load_b128 s[8:11], s[0:1], 0x28
	v_mul_u32_u24_e32 v1, 0x4ed, v0
	s_mov_b32 s2, exec_lo
	v_mov_b32_e32 v133, 0
	s_delay_alu instid0(VALU_DEP_2) | instskip(NEXT) | instid1(VALU_DEP_1)
	v_lshrrev_b32_e32 v1, 16, v1
	v_add_nc_u32_e32 v132, ttmp9, v1
	s_wait_kmcnt 0x0
	s_delay_alu instid0(VALU_DEP_1)
	v_cmpx_gt_u64_e64 s[8:9], v[132:133]
	s_cbranch_execz .LBB0_23
; %bb.1:
	v_mul_lo_u16 v1, v1, 52
	s_clause 0x1
	s_load_b64 s[12:13], s[0:1], 0x0
	s_load_b64 s[8:9], s[0:1], 0x38
	s_delay_alu instid0(VALU_DEP_1) | instskip(NEXT) | instid1(VALU_DEP_1)
	v_sub_nc_u16 v0, v0, v1
	v_and_b32_e32 v231, 0xffff, v0
	v_cmp_gt_u16_e32 vcc_lo, 40, v0
	s_delay_alu instid0(VALU_DEP_2)
	v_lshlrev_b32_e32 v230, 4, v231
	v_or_b32_e32 v229, 0x140, v231
	s_and_saveexec_b32 s3, vcc_lo
	s_cbranch_execz .LBB0_3
; %bb.2:
	s_load_b64 s[4:5], s[0:1], 0x18
	s_wait_kmcnt 0x0
	s_load_b128 s[4:7], s[4:5], 0x0
	s_wait_kmcnt 0x0
	v_mad_co_u64_u32 v[0:1], null, s6, v132, 0
	v_mad_co_u64_u32 v[2:3], null, s4, v231, 0
	;; [unrolled: 1-line block ×3, first 2 shown]
	s_delay_alu instid0(VALU_DEP_2) | instskip(SKIP_1) | instid1(VALU_DEP_1)
	v_mad_co_u64_u32 v[4:5], null, s7, v132, v[1:2]
	s_mul_u64 s[6:7], s[4:5], 0x280
	v_mad_co_u64_u32 v[5:6], null, s5, v231, v[3:4]
	v_mov_b32_e32 v1, v4
	s_delay_alu instid0(VALU_DEP_1) | instskip(NEXT) | instid1(VALU_DEP_3)
	v_lshlrev_b64_e32 v[0:1], 4, v[0:1]
	v_mov_b32_e32 v3, v5
	s_delay_alu instid0(VALU_DEP_2) | instskip(NEXT) | instid1(VALU_DEP_2)
	v_add_co_u32 v26, s2, s10, v0
	v_lshlrev_b64_e32 v[2:3], 4, v[2:3]
	s_delay_alu instid0(VALU_DEP_4) | instskip(SKIP_1) | instid1(VALU_DEP_3)
	v_add_co_ci_u32_e64 v27, s2, s11, v1, s2
	v_mov_b32_e32 v0, v17
	v_add_co_u32 v44, s2, v26, v2
	s_wait_alu 0xf1ff
	s_delay_alu instid0(VALU_DEP_3) | instskip(NEXT) | instid1(VALU_DEP_3)
	v_add_co_ci_u32_e64 v45, s2, v27, v3, s2
	v_mad_co_u64_u32 v[8:9], null, s5, v229, v[0:1]
	s_wait_alu 0xfffe
	v_add_co_u32 v48, s2, v44, s6
	s_wait_alu 0xf1ff
	v_add_co_ci_u32_e64 v49, s2, s7, v45, s2
	s_clause 0x1
	global_load_b128 v[0:3], v230, s[12:13]
	global_load_b128 v[4:7], v230, s[12:13] offset:640
	v_add_co_u32 v52, s2, v48, s6
	s_wait_alu 0xf1ff
	v_add_co_ci_u32_e64 v53, s2, s7, v49, s2
	v_mov_b32_e32 v17, v8
	s_delay_alu instid0(VALU_DEP_3) | instskip(SKIP_1) | instid1(VALU_DEP_3)
	v_add_co_u32 v56, s2, v52, s6
	s_wait_alu 0xf1ff
	v_add_co_ci_u32_e64 v57, s2, s7, v53, s2
	s_delay_alu instid0(VALU_DEP_3) | instskip(NEXT) | instid1(VALU_DEP_3)
	v_lshlrev_b64_e32 v[24:25], 4, v[16:17]
	v_add_co_u32 v60, s2, v56, s6
	s_wait_alu 0xf1ff
	s_delay_alu instid0(VALU_DEP_3)
	v_add_co_ci_u32_e64 v61, s2, s7, v57, s2
	s_clause 0x1
	global_load_b128 v[8:11], v230, s[12:13] offset:1280
	global_load_b128 v[12:15], v230, s[12:13] offset:1920
	v_add_co_u32 v64, s2, v60, s6
	s_wait_alu 0xf1ff
	v_add_co_ci_u32_e64 v65, s2, s7, v61, s2
	s_clause 0x1
	global_load_b128 v[16:19], v230, s[12:13] offset:2560
	global_load_b128 v[20:23], v230, s[12:13] offset:3200
	v_add_co_u32 v68, s2, v64, s6
	s_wait_alu 0xf1ff
	v_add_co_ci_u32_e64 v69, s2, s7, v65, s2
	s_delay_alu instid0(VALU_DEP_2) | instskip(SKIP_1) | instid1(VALU_DEP_2)
	v_add_co_u32 v72, s2, v68, s6
	s_wait_alu 0xf1ff
	v_add_co_ci_u32_e64 v73, s2, s7, v69, s2
	v_add_co_u32 v40, s2, v26, v24
	s_wait_alu 0xf1ff
	v_add_co_ci_u32_e64 v41, s2, v27, v25, s2
	s_delay_alu instid0(VALU_DEP_3)
	v_mad_co_u64_u32 v[76:77], null, 0x500, s4, v[72:73]
	s_clause 0x3
	global_load_b128 v[24:27], v230, s[12:13] offset:3840
	global_load_b128 v[28:31], v230, s[12:13] offset:4480
	;; [unrolled: 1-line block ×4, first 2 shown]
	global_load_b128 v[40:43], v[40:41], off
	v_mov_b32_e32 v46, v77
	v_add_co_u32 v80, s2, v76, s6
	s_delay_alu instid0(VALU_DEP_2)
	v_mad_co_u64_u32 v[74:75], null, 0x500, s5, v[46:47]
	s_clause 0x4
	global_load_b128 v[44:47], v[44:45], off
	global_load_b128 v[48:51], v[48:49], off
	;; [unrolled: 1-line block ×7, first 2 shown]
	v_mov_b32_e32 v77, v74
	global_load_b128 v[72:75], v[72:73], off
	s_wait_alu 0xf1ff
	v_add_co_ci_u32_e64 v81, s2, s7, v77, s2
	v_add_co_u32 v92, s2, v80, s6
	global_load_b128 v[76:79], v[76:77], off
	s_wait_alu 0xf1ff
	v_add_co_ci_u32_e64 v93, s2, s7, v81, s2
	v_add_co_u32 v100, s2, v92, s6
	global_load_b128 v[80:83], v[80:81], off
	s_wait_alu 0xf1ff
	v_add_co_ci_u32_e64 v101, s2, s7, v93, s2
	s_clause 0x1
	global_load_b128 v[84:87], v230, s[12:13] offset:6400
	global_load_b128 v[88:91], v230, s[12:13] offset:7040
	global_load_b128 v[92:95], v[92:93], off
	global_load_b128 v[96:99], v230, s[12:13] offset:7680
	global_load_b128 v[100:103], v[100:101], off
	s_wait_loadcnt 0xf
	v_mul_f64_e32 v[106:107], v[42:43], v[34:35]
	v_mul_f64_e32 v[34:35], v[40:41], v[34:35]
	s_wait_loadcnt 0xe
	v_mul_f64_e32 v[104:105], v[46:47], v[2:3]
	v_mul_f64_e32 v[2:3], v[44:45], v[2:3]
	;; [unrolled: 3-line block ×13, first 2 shown]
	v_fma_f64 v[44:45], v[44:45], v[0:1], v[104:105]
	v_fma_f64 v[46:47], v[46:47], v[0:1], -v[2:3]
	v_fma_f64 v[0:1], v[40:41], v[32:33], v[106:107]
	v_fma_f64 v[2:3], v[42:43], v[32:33], -v[34:35]
	;; [unrolled: 2-line block ×13, first 2 shown]
	ds_store_b128 v230, v[44:47]
	ds_store_b128 v230, v[30:33] offset:640
	ds_store_b128 v230, v[4:7] offset:1280
	;; [unrolled: 1-line block ×12, first 2 shown]
.LBB0_3:
	s_or_b32 exec_lo, exec_lo, s3
	s_load_b64 s[4:5], s[0:1], 0x20
	global_wb scope:SCOPE_SE
	s_wait_dscnt 0x0
	s_wait_kmcnt 0x0
	s_barrier_signal -1
	s_barrier_wait -1
	global_inv scope:SCOPE_SE
                                        ; implicit-def: $vgpr12_vgpr13
                                        ; implicit-def: $vgpr40_vgpr41
                                        ; implicit-def: $vgpr48_vgpr49
                                        ; implicit-def: $vgpr28_vgpr29
                                        ; implicit-def: $vgpr24_vgpr25
                                        ; implicit-def: $vgpr8_vgpr9
                                        ; implicit-def: $vgpr4_vgpr5
                                        ; implicit-def: $vgpr16_vgpr17
                                        ; implicit-def: $vgpr20_vgpr21
                                        ; implicit-def: $vgpr32_vgpr33
                                        ; implicit-def: $vgpr36_vgpr37
                                        ; implicit-def: $vgpr52_vgpr53
                                        ; implicit-def: $vgpr44_vgpr45
	s_and_saveexec_b32 s2, vcc_lo
	s_cbranch_execz .LBB0_5
; %bb.4:
	ds_load_b128 v[12:15], v230
	ds_load_b128 v[44:47], v230 offset:640
	ds_load_b128 v[52:55], v230 offset:1280
	;; [unrolled: 1-line block ×12, first 2 shown]
.LBB0_5:
	s_wait_alu 0xfffe
	s_or_b32 exec_lo, exec_lo, s2
	s_wait_dscnt 0x0
	v_add_f64_e64 v[88:89], v[46:47], -v[6:7]
	v_add_f64_e64 v[58:59], v[44:45], -v[4:5]
	s_mov_b32 s6, 0x4267c47c
	s_mov_b32 s10, 0x42a4c3d2
	;; [unrolled: 1-line block ×6, first 2 shown]
	v_add_f64_e32 v[56:57], v[4:5], v[44:45]
	v_add_f64_e32 v[86:87], v[6:7], v[46:47]
	v_add_f64_e64 v[62:63], v[54:55], -v[10:11]
	v_add_f64_e64 v[60:61], v[52:53], -v[8:9]
	s_mov_b32 s22, 0xe00740e9
	s_mov_b32 s16, 0x1ea71119
	s_mov_b32 s18, 0x2ef20147
	s_mov_b32 s20, 0xebaa3ed8
	s_mov_b32 s26, 0x4bc48dbf
	s_mov_b32 s23, 0x3fec55a7
	s_mov_b32 s17, 0x3fe22d96
	s_mov_b32 s19, 0xbfedeba7
	s_mov_b32 s21, 0x3fbedb7d
	s_mov_b32 s27, 0xbfcea1e5
	v_add_f64_e32 v[96:97], v[8:9], v[52:53]
	v_add_f64_e32 v[177:178], v[10:11], v[54:55]
	v_add_f64_e64 v[175:176], v[42:43], -v[18:19]
	v_add_f64_e64 v[151:152], v[40:41], -v[16:17]
	s_mov_b32 s24, 0xb2365da1
	s_mov_b32 s30, 0x93053d00
	;; [unrolled: 1-line block ×6, first 2 shown]
	v_add_f64_e32 v[128:129], v[40:41], v[16:17]
	v_add_f64_e32 v[181:182], v[42:43], v[18:19]
	v_add_f64_e64 v[74:75], v[48:49], -v[20:21]
	v_add_f64_e64 v[104:105], v[50:51], -v[22:23]
	s_mov_b32 s40, 0x24c2f84
	s_mov_b32 s41, 0x3fe5384d
	s_wait_alu 0xfffe
	v_mul_f64_e32 v[64:65], s[6:7], v[88:89]
	v_mul_f64_e32 v[66:67], s[6:7], v[58:59]
	;; [unrolled: 1-line block ×6, first 2 shown]
	s_mov_b32 s37, 0x3fddbe06
	s_mov_b32 s36, s6
	v_add_f64_e32 v[98:99], v[48:49], v[20:21]
	v_add_f64_e32 v[183:184], v[50:51], v[22:23]
	v_mul_f64_e32 v[106:107], s[10:11], v[62:63]
	v_mul_f64_e32 v[135:136], s[10:11], v[60:61]
	;; [unrolled: 1-line block ×6, first 2 shown]
	v_add_f64_e64 v[84:85], v[36:37], -v[24:25]
	v_add_f64_e64 v[147:148], v[38:39], -v[26:27]
	s_mov_b32 s38, 0xd0032e0c
	s_mov_b32 s43, 0xbfe5384d
	;; [unrolled: 1-line block ×6, first 2 shown]
	v_mul_f64_e32 v[139:140], s[14:15], v[175:176]
	v_mul_f64_e32 v[159:160], s[14:15], v[151:152]
	;; [unrolled: 1-line block ×6, first 2 shown]
	v_add_f64_e32 v[179:180], v[26:27], v[38:39]
	v_add_f64_e64 v[155:156], v[34:35], -v[30:31]
	s_load_b64 s[2:3], s[0:1], 0x8
	v_mul_lo_u16 v232, v231, 13
	v_mul_f64_e32 v[122:123], s[18:19], v[74:75]
	v_mul_f64_e32 v[120:121], s[18:19], v[104:105]
	;; [unrolled: 1-line block ×4, first 2 shown]
	v_fma_f64 v[0:1], v[56:57], s[22:23], v[64:65]
	v_fma_f64 v[2:3], v[86:87], s[22:23], -v[66:67]
	v_fma_f64 v[72:73], v[56:57], s[16:17], v[68:69]
	v_fma_f64 v[76:77], v[86:87], s[16:17], -v[70:71]
	v_fma_f64 v[78:79], v[56:57], s[20:21], v[161:162]
	v_fma_f64 v[80:81], v[86:87], s[20:21], -v[165:166]
	v_mul_f64_e32 v[137:138], s[36:37], v[104:105]
	v_mul_f64_e32 v[143:144], s[36:37], v[74:75]
	global_wb scope:SCOPE_SE
	s_wait_kmcnt 0x0
	s_barrier_signal -1
	v_fma_f64 v[82:83], v[96:97], s[16:17], v[106:107]
	v_fma_f64 v[90:91], v[177:178], s[16:17], -v[135:136]
	v_fma_f64 v[92:93], v[96:97], s[24:25], v[145:146]
	v_fma_f64 v[94:95], v[177:178], s[24:25], -v[149:150]
	;; [unrolled: 2-line block ×3, first 2 shown]
	v_mul_f64_e32 v[114:115], s[42:43], v[84:85]
	v_mul_f64_e32 v[110:111], s[42:43], v[147:148]
	;; [unrolled: 1-line block ×6, first 2 shown]
	s_barrier_wait -1
	global_inv scope:SCOPE_SE
	v_fma_f64 v[108:109], v[128:129], s[20:21], v[139:140]
	v_fma_f64 v[112:113], v[181:182], s[20:21], -v[159:160]
	v_fma_f64 v[124:125], v[128:129], s[30:31], v[163:164]
	v_fma_f64 v[173:174], v[181:182], s[30:31], -v[167:168]
	;; [unrolled: 2-line block ×3, first 2 shown]
	v_fma_f64 v[191:192], v[183:184], s[24:25], -v[122:123]
	v_fma_f64 v[189:190], v[98:99], s[24:25], v[120:121]
	v_fma_f64 v[193:194], v[98:99], s[38:39], v[126:127]
	v_fma_f64 v[195:196], v[183:184], s[38:39], -v[133:134]
	v_add_f64_e32 v[0:1], v[12:13], v[0:1]
	v_add_f64_e32 v[2:3], v[14:15], v[2:3]
	;; [unrolled: 1-line block ×6, first 2 shown]
	v_fma_f64 v[197:198], v[98:99], s[22:23], v[137:138]
	v_fma_f64 v[199:200], v[183:184], s[22:23], -v[143:144]
	v_fma_f64 v[203:204], v[179:180], s[20:21], -v[118:119]
	;; [unrolled: 1-line block ×3, first 2 shown]
	v_add_f64_e32 v[0:1], v[82:83], v[0:1]
	v_add_f64_e32 v[2:3], v[90:91], v[2:3]
	;; [unrolled: 1-line block ×7, first 2 shown]
	v_add_f64_e64 v[72:73], v[32:33], -v[28:29]
	v_add_f64_e32 v[92:93], v[28:29], v[32:33]
	v_mul_f64_e32 v[94:95], s[26:27], v[155:156]
	v_mul_f64_e32 v[102:103], s[36:37], v[155:156]
	v_add_f64_e32 v[0:1], v[108:109], v[0:1]
	v_add_f64_e32 v[2:3], v[112:113], v[2:3]
	;; [unrolled: 1-line block ×7, first 2 shown]
	v_mul_f64_e32 v[100:101], s[26:27], v[72:73]
	v_mul_f64_e32 v[108:109], s[36:37], v[72:73]
	;; [unrolled: 1-line block ×4, first 2 shown]
	v_fma_f64 v[185:186], v[90:91], s[38:39], v[110:111]
	v_fma_f64 v[187:188], v[179:180], s[38:39], -v[114:115]
	v_fma_f64 v[201:202], v[90:91], s[20:21], v[116:117]
	v_fma_f64 v[205:206], v[90:91], s[16:17], v[130:131]
	v_add_f64_e32 v[0:1], v[189:190], v[0:1]
	v_add_f64_e32 v[2:3], v[191:192], v[2:3]
	;; [unrolled: 1-line block ×6, first 2 shown]
	v_fma_f64 v[189:190], v[92:93], s[30:31], v[94:95]
	v_fma_f64 v[191:192], v[173:174], s[30:31], -v[100:101]
	v_fma_f64 v[193:194], v[92:93], s[22:23], v[102:103]
	v_fma_f64 v[195:196], v[173:174], s[22:23], -v[108:109]
	;; [unrolled: 2-line block ×3, first 2 shown]
	v_add_f64_e32 v[0:1], v[185:186], v[0:1]
	v_add_f64_e32 v[2:3], v[187:188], v[2:3]
	;; [unrolled: 1-line block ×12, first 2 shown]
	s_and_saveexec_b32 s33, vcc_lo
	s_cbranch_execz .LBB0_7
; %bb.6:
	v_add_f64_e32 v[46:47], v[14:15], v[46:47]
	v_add_f64_e32 v[44:45], v[12:13], v[44:45]
	v_mul_f64_e32 v[185:186], s[42:43], v[88:89]
	v_mul_f64_e32 v[187:188], s[16:17], v[86:87]
	;; [unrolled: 1-line block ×4, first 2 shown]
	s_mov_b32 s45, 0x3fcea1e5
	s_mov_b32 s44, s26
	v_mul_f64_e32 v[195:196], s[38:39], v[181:182]
	v_mul_f64_e32 v[201:202], s[16:17], v[181:182]
	v_mul_f64_e32 v[203:204], s[22:23], v[181:182]
	v_mul_f64_e32 v[205:206], s[22:23], v[177:178]
	v_mul_f64_e32 v[207:208], s[20:21], v[177:178]
	v_mul_f64_e32 v[209:210], s[38:39], v[177:178]
	v_mul_f64_e32 v[215:216], s[30:31], v[177:178]
	v_mul_f64_e32 v[227:228], s[24:25], v[177:178]
	v_mul_f64_e32 v[237:238], s[24:25], v[96:97]
	v_mul_f64_e32 v[177:178], s[16:17], v[177:178]
	v_mul_f64_e32 v[243:244], s[36:37], v[62:63]
	v_mul_f64_e32 v[245:246], s[34:35], v[62:63]
	v_mul_f64_e32 v[221:222], s[30:31], v[96:97]
	v_mul_f64_e32 v[62:63], s[40:41], v[62:63]
	v_mul_f64_e32 v[247:248], s[16:17], v[96:97]
	s_mov_b32 s1, 0x3fea55e2
	s_mov_b32 s0, s10
	v_mul_f64_e32 v[193:194], s[16:17], v[183:184]
	v_mul_f64_e32 v[197:198], s[30:31], v[183:184]
	v_mul_f64_e32 v[199:200], s[20:21], v[183:184]
	v_mul_f64_e32 v[211:212], s[22:23], v[183:184]
	v_mul_f64_e32 v[213:214], s[24:25], v[181:182]
	v_mul_f64_e32 v[223:224], s[38:39], v[183:184]
	v_mul_f64_e32 v[225:226], s[30:31], v[181:182]
	v_mul_f64_e32 v[235:236], s[30:31], v[128:129]
	v_mul_f64_e32 v[239:240], s[10:11], v[175:176]
	v_mul_f64_e32 v[219:220], s[24:25], v[128:129]
	v_mul_f64_e32 v[241:242], s[20:21], v[128:129]
	v_mul_f64_e32 v[233:234], s[38:39], v[98:99]
	v_mul_f64_e32 v[217:218], s[22:23], v[98:99]
	v_add_f64_e32 v[46:47], v[54:55], v[46:47]
	v_add_f64_e32 v[44:45], v[52:53], v[44:45]
	v_mul_f64_e32 v[52:53], s[26:27], v[88:89]
	v_mul_f64_e32 v[54:55], s[20:21], v[56:57]
	;; [unrolled: 1-line block ×3, first 2 shown]
	v_add_f64_e32 v[70:71], v[70:71], v[187:188]
	v_add_f64_e64 v[68:69], v[189:190], -v[68:69]
	v_add_f64_e64 v[64:65], v[191:192], -v[64:65]
	v_fma_f64 v[189:190], v[151:152], s[42:43], v[195:196]
	s_wait_alu 0xfffe
	v_fma_f64 v[191:192], v[151:152], s[0:1], v[201:202]
	v_add_f64_e32 v[157:158], v[157:158], v[215:216]
	v_add_f64_e32 v[149:150], v[149:150], v[227:228]
	v_add_f64_e64 v[145:146], v[237:238], -v[145:146]
	v_add_f64_e32 v[135:136], v[135:136], v[177:178]
	v_fma_f64 v[177:178], v[96:97], s[22:23], v[243:244]
	v_fma_f64 v[243:244], v[96:97], s[22:23], -v[243:244]
	v_add_f64_e64 v[153:154], v[221:222], -v[153:154]
	v_mul_f64_e32 v[215:216], s[20:21], v[179:180]
	v_add_f64_e64 v[106:107], v[247:248], -v[106:107]
	v_mul_f64_e32 v[221:222], s[22:23], v[179:180]
	v_mul_f64_e32 v[227:228], s[18:19], v[147:148]
	;; [unrolled: 1-line block ×3, first 2 shown]
	v_add_f64_e32 v[143:144], v[143:144], v[211:212]
	v_add_f64_e32 v[171:172], v[171:172], v[213:214]
	v_mul_f64_e32 v[213:214], s[20:21], v[90:91]
	v_add_f64_e32 v[167:168], v[167:168], v[225:226]
	v_add_f64_e64 v[163:164], v[235:236], -v[163:164]
	v_mul_f64_e32 v[225:226], s[30:31], v[179:180]
	v_add_f64_e64 v[169:170], v[219:220], -v[169:170]
	v_add_f64_e64 v[139:140], v[241:242], -v[139:140]
	v_mul_f64_e32 v[219:220], s[24:25], v[179:180]
	v_mul_f64_e32 v[235:236], s[36:37], v[147:148]
	v_add_f64_e32 v[42:43], v[42:43], v[46:47]
	v_add_f64_e32 v[40:41], v[40:41], v[44:45]
	v_mul_f64_e32 v[44:45], s[30:31], v[86:87]
	v_mul_f64_e32 v[46:47], s[38:39], v[86:87]
	v_add_f64_e64 v[54:55], v[54:55], -v[161:162]
	v_fma_f64 v[161:162], v[56:57], s[38:39], v[185:186]
	v_fma_f64 v[185:186], v[56:57], s[38:39], -v[185:186]
	v_fma_f64 v[187:188], v[56:57], s[24:25], v[88:89]
	v_add_f64_e32 v[70:71], v[14:15], v[70:71]
	v_add_f64_e32 v[68:69], v[12:13], v[68:69]
	;; [unrolled: 1-line block ×3, first 2 shown]
	v_add_f64_e64 v[126:127], v[233:234], -v[126:127]
	v_add_f64_e64 v[137:138], v[217:218], -v[137:138]
	v_mul_f64_e32 v[147:148], s[44:45], v[147:148]
	v_mul_f64_e32 v[241:242], s[22:23], v[173:174]
	v_add_f64_e32 v[118:119], v[118:119], v[215:216]
	v_add_f64_e64 v[130:131], v[237:238], -v[130:131]
	v_add_f64_e64 v[116:117], v[213:214], -v[116:117]
	v_add_f64_e32 v[42:43], v[50:51], v[42:43]
	v_add_f64_e32 v[40:41], v[48:49], v[40:41]
	v_mul_f64_e32 v[48:49], s[24:25], v[86:87]
	v_mul_f64_e32 v[50:51], s[20:21], v[86:87]
	;; [unrolled: 1-line block ×3, first 2 shown]
	v_fma_f64 v[249:250], v[58:59], s[44:45], v[44:45]
	v_fma_f64 v[44:45], v[58:59], s[26:27], v[44:45]
	;; [unrolled: 1-line block ×4, first 2 shown]
	v_add_f64_e32 v[54:55], v[12:13], v[54:55]
	v_add_f64_e32 v[185:186], v[12:13], v[185:186]
	;; [unrolled: 1-line block ×7, first 2 shown]
	v_mul_f64_e32 v[42:43], s[20:21], v[181:182]
	v_fma_f64 v[253:254], v[58:59], s[28:29], v[48:49]
	v_fma_f64 v[48:49], v[58:59], s[18:19], v[48:49]
	v_add_f64_e32 v[50:51], v[165:166], v[50:51]
	v_fma_f64 v[165:166], v[56:57], s[30:31], v[52:53]
	v_fma_f64 v[52:53], v[56:57], s[30:31], -v[52:53]
	v_fma_f64 v[56:57], v[56:57], s[24:25], -v[88:89]
	v_add_f64_e32 v[66:67], v[66:67], v[86:87]
	v_mul_f64_e32 v[40:41], s[24:25], v[183:184]
	v_mul_f64_e32 v[183:184], s[42:43], v[175:176]
	v_fma_f64 v[86:87], v[151:152], s[40:41], v[195:196]
	v_fma_f64 v[195:196], v[151:152], s[10:11], v[201:202]
	;; [unrolled: 1-line block ×3, first 2 shown]
	v_add_f64_e32 v[44:45], v[14:15], v[44:45]
	v_add_f64_e32 v[46:47], v[14:15], v[46:47]
	;; [unrolled: 1-line block ×3, first 2 shown]
	v_mul_f64_e32 v[175:176], s[36:37], v[175:176]
	v_mul_f64_e32 v[58:59], s[14:15], v[104:105]
	v_add_f64_e32 v[54:55], v[153:154], v[54:55]
	v_mul_f64_e32 v[181:182], s[24:25], v[98:99]
	v_mul_f64_e32 v[88:89], s[38:39], v[90:91]
	v_add_f64_e32 v[34:35], v[34:35], v[38:39]
	v_add_f64_e32 v[32:33], v[32:33], v[36:37]
	v_fma_f64 v[36:37], v[151:152], s[6:7], v[203:204]
	v_fma_f64 v[38:39], v[151:152], s[36:37], v[203:204]
	;; [unrolled: 1-line block ×7, first 2 shown]
	v_add_f64_e32 v[42:43], v[159:160], v[42:43]
	v_add_f64_e32 v[159:160], v[14:15], v[249:250]
	;; [unrolled: 1-line block ×9, first 2 shown]
	v_fma_f64 v[66:67], v[128:129], s[38:39], v[183:184]
	v_fma_f64 v[183:184], v[128:129], s[38:39], -v[183:184]
	v_add_f64_e32 v[44:45], v[201:202], v[44:45]
	v_fma_f64 v[253:254], v[128:129], s[22:23], v[175:176]
	v_mul_f64_e32 v[209:210], s[38:39], v[179:180]
	v_mul_f64_e32 v[179:180], s[16:17], v[179:180]
	v_add_f64_e32 v[40:41], v[122:123], v[40:41]
	v_fma_f64 v[122:123], v[98:99], s[20:21], v[58:59]
	v_fma_f64 v[58:59], v[98:99], s[20:21], -v[58:59]
	v_add_f64_e32 v[54:55], v[169:170], v[54:55]
	v_add_f64_e64 v[120:121], v[181:182], -v[120:121]
	v_mul_f64_e32 v[201:202], s[20:21], v[173:174]
	v_add_f64_e64 v[88:89], v[88:89], -v[110:111]
	v_fma_f64 v[110:111], v[90:91], s[30:31], v[147:148]
	v_mul_f64_e32 v[249:250], s[30:31], v[92:93]
	v_add_f64_e32 v[30:31], v[30:31], v[34:35]
	v_add_f64_e32 v[28:29], v[28:29], v[32:33]
	v_fma_f64 v[32:33], v[96:97], s[20:21], v[245:246]
	v_add_f64_e32 v[34:35], v[12:13], v[161:162]
	v_fma_f64 v[161:162], v[96:97], s[20:21], -v[245:246]
	v_fma_f64 v[245:246], v[96:97], s[38:39], v[62:63]
	v_fma_f64 v[62:63], v[96:97], s[38:39], -v[62:63]
	v_add_f64_e32 v[12:13], v[12:13], v[64:65]
	v_fma_f64 v[64:65], v[128:129], s[16:17], v[239:240]
	v_add_f64_e32 v[46:47], v[205:206], v[46:47]
	v_add_f64_e32 v[151:152], v[151:152], v[159:160]
	;; [unrolled: 1-line block ×4, first 2 shown]
	v_mul_f64_e32 v[243:244], s[0:1], v[104:105]
	v_mul_f64_e32 v[104:105], s[44:45], v[104:105]
	v_add_f64_e32 v[48:49], v[60:61], v[48:49]
	v_add_f64_e32 v[50:51], v[157:158], v[50:51]
	;; [unrolled: 1-line block ×4, first 2 shown]
	v_fma_f64 v[239:240], v[128:129], s[16:17], -v[239:240]
	v_fma_f64 v[128:129], v[128:129], s[22:23], -v[175:176]
	v_add_f64_e32 v[70:71], v[207:208], v[247:248]
	v_add_f64_e32 v[14:15], v[135:136], v[14:15]
	v_fma_f64 v[135:136], v[74:75], s[44:45], v[197:198]
	v_add_f64_e32 v[44:45], v[189:190], v[44:45]
	v_fma_f64 v[149:150], v[74:75], s[34:35], v[199:200]
	v_mul_f64_e32 v[175:176], s[22:23], v[92:93]
	v_mul_f64_e32 v[251:252], s[34:35], v[155:156]
	;; [unrolled: 1-line block ×3, first 2 shown]
	v_add_f64_e32 v[141:142], v[141:142], v[179:180]
	v_mul_f64_e32 v[159:160], s[38:39], v[92:93]
	v_mul_f64_e32 v[177:178], s[38:39], v[173:174]
	v_add_f64_e32 v[54:55], v[137:138], v[54:55]
	v_mul_f64_e32 v[96:97], s[30:31], v[173:174]
	v_mul_f64_e32 v[155:156], s[0:1], v[155:156]
	v_add_f64_e32 v[114:115], v[114:115], v[209:210]
	v_add_f64_e64 v[94:95], v[249:250], -v[94:95]
	v_add_f64_e32 v[26:27], v[26:27], v[30:31]
	v_add_f64_e32 v[24:25], v[24:25], v[28:29]
	v_fma_f64 v[28:29], v[74:75], s[10:11], v[193:194]
	v_add_f64_e32 v[32:33], v[32:33], v[34:35]
	v_fma_f64 v[30:31], v[74:75], s[0:1], v[193:194]
	v_add_f64_e32 v[145:146], v[245:246], v[187:188]
	v_add_f64_e32 v[56:57], v[62:63], v[56:57]
	;; [unrolled: 1-line block ×8, first 2 shown]
	v_fma_f64 v[153:154], v[98:99], s[16:17], v[243:244]
	v_fma_f64 v[157:158], v[98:99], s[16:17], -v[243:244]
	v_fma_f64 v[161:162], v[98:99], s[30:31], v[104:105]
	v_add_f64_e32 v[38:39], v[38:39], v[48:49]
	v_add_f64_e32 v[48:49], v[171:172], v[50:51]
	;; [unrolled: 1-line block ×4, first 2 shown]
	v_fma_f64 v[106:107], v[74:75], s[26:27], v[197:198]
	v_fma_f64 v[98:99], v[98:99], s[30:31], -v[104:105]
	v_add_f64_e32 v[104:105], v[191:192], v[203:204]
	v_fma_f64 v[74:75], v[74:75], s[14:15], v[199:200]
	v_add_f64_e32 v[36:37], v[36:37], v[70:71]
	v_add_f64_e32 v[14:15], v[42:43], v[14:15]
	v_mul_f64_e32 v[34:35], s[24:25], v[173:174]
	v_fma_f64 v[68:69], v[84:85], s[36:37], v[221:222]
	v_fma_f64 v[42:43], v[84:85], s[6:7], v[221:222]
	v_mul_f64_e32 v[173:174], s[16:17], v[173:174]
	v_fma_f64 v[70:71], v[84:85], s[26:27], v[225:226]
	v_fma_f64 v[151:152], v[90:91], s[22:23], -v[235:236]
	v_add_f64_e64 v[102:103], v[175:176], -v[102:103]
	v_add_f64_e64 v[112:113], v[159:160], -v[112:113]
	v_add_f64_e32 v[96:97], v[100:101], v[96:97]
	v_fma_f64 v[100:101], v[92:93], s[16:17], v[155:156]
	v_add_f64_e32 v[22:23], v[22:23], v[26:27]
	v_add_f64_e32 v[20:21], v[20:21], v[24:25]
	v_fma_f64 v[24:25], v[84:85], s[28:29], v[219:220]
	v_add_f64_e32 v[32:33], v[64:65], v[32:33]
	v_fma_f64 v[26:27], v[84:85], s[18:19], v[219:220]
	v_add_f64_e32 v[64:65], v[253:254], v[145:146]
	v_add_f64_e32 v[56:57], v[128:129], v[56:57]
	;; [unrolled: 1-line block ×4, first 2 shown]
	v_fma_f64 v[128:129], v[90:91], s[24:25], v[227:228]
	v_fma_f64 v[139:140], v[90:91], s[24:25], -v[227:228]
	v_fma_f64 v[145:146], v[90:91], s[22:23], v[235:236]
	v_add_f64_e32 v[28:29], v[28:29], v[86:87]
	v_add_f64_e32 v[66:67], v[153:154], v[66:67]
	;; [unrolled: 1-line block ×8, first 2 shown]
	v_fma_f64 v[84:85], v[84:85], s[44:45], v[225:226]
	v_fma_f64 v[90:91], v[90:91], s[30:31], -v[147:148]
	v_add_f64_e32 v[52:53], v[106:107], v[104:105]
	v_add_f64_e32 v[38:39], v[74:75], v[38:39]
	;; [unrolled: 1-line block ×4, first 2 shown]
	v_fma_f64 v[74:75], v[72:73], s[28:29], v[34:35]
	v_fma_f64 v[86:87], v[92:93], s[24:25], v[205:206]
	;; [unrolled: 1-line block ×3, first 2 shown]
	v_add_f64_e32 v[106:107], v[124:125], v[177:178]
	v_fma_f64 v[40:41], v[72:73], s[34:35], v[201:202]
	v_fma_f64 v[104:105], v[72:73], s[10:11], v[173:174]
	v_add_f64_e32 v[18:19], v[18:19], v[22:23]
	v_add_f64_e32 v[16:17], v[16:17], v[20:21]
	v_fma_f64 v[22:23], v[92:93], s[20:21], v[251:252]
	v_add_f64_e32 v[32:33], v[161:162], v[32:33]
	v_fma_f64 v[20:21], v[72:73], s[14:15], v[201:202]
	v_fma_f64 v[72:73], v[72:73], s[0:1], v[173:174]
	v_add_f64_e32 v[56:57], v[58:59], v[56:57]
	v_add_f64_e32 v[58:59], v[98:99], v[62:63]
	;; [unrolled: 1-line block ×4, first 2 shown]
	v_fma_f64 v[64:65], v[92:93], s[20:21], -v[251:252]
	v_fma_f64 v[98:99], v[92:93], s[24:25], -v[205:206]
	v_add_f64_e32 v[24:25], v[24:25], v[28:29]
	v_add_f64_e32 v[28:29], v[128:129], v[66:67]
	;; [unrolled: 1-line block ×8, first 2 shown]
	v_fma_f64 v[92:93], v[92:93], s[16:17], -v[155:156]
	v_add_f64_e32 v[42:43], v[42:43], v[52:53]
	v_add_f64_e32 v[52:53], v[130:131], v[54:55]
	;; [unrolled: 1-line block ×19, first 2 shown]
	v_and_b32_e32 v44, 0xffff, v232
	v_add_f64_e32 v[18:19], v[74:75], v[42:43]
	v_add_f64_e32 v[28:29], v[112:113], v[52:53]
	;; [unrolled: 1-line block ×5, first 2 shown]
	v_lshlrev_b32_e32 v44, 4, v44
	v_add_f64_e32 v[4:5], v[4:5], v[66:67]
	v_add_f64_e32 v[16:17], v[86:87], v[32:33]
	;; [unrolled: 1-line block ×8, first 2 shown]
	ds_store_b128 v44, v[76:79] offset:160
	ds_store_b128 v44, v[80:83] offset:176
	;; [unrolled: 1-line block ×10, first 2 shown]
	ds_store_b128 v44, v[4:7]
	ds_store_b128 v44, v[40:43] offset:16
	ds_store_b128 v44, v[0:3] offset:192
.LBB0_7:
	s_or_b32 exec_lo, exec_lo, s33
	v_and_b32_e32 v4, 0xff, v231
	s_load_b128 s[4:7], s[4:5], 0x0
	global_wb scope:SCOPE_SE
	s_wait_dscnt 0x0
	s_wait_kmcnt 0x0
	s_barrier_signal -1
	s_barrier_wait -1
	v_mul_lo_u16 v4, 0x4f, v4
	global_inv scope:SCOPE_SE
	s_mov_b32 s10, 0x134454ff
	s_mov_b32 s11, 0x3fee6f0e
	s_mov_b32 s1, 0xbfee6f0e
	v_lshrrev_b16 v28, 10, v4
	s_wait_alu 0xfffe
	s_mov_b32 s0, s10
	s_mov_b32 s16, 0x4755a5e
	;; [unrolled: 1-line block ×4, first 2 shown]
	v_mul_lo_u16 v4, v28, 13
	s_wait_alu 0xfffe
	s_mov_b32 s14, s16
	s_mov_b32 s18, 0x372fe950
	;; [unrolled: 1-line block ×4, first 2 shown]
	v_sub_nc_u16 v4, v231, v4
	s_mov_b32 s21, 0x3fe9e377
	v_and_b32_e32 v28, 0xffff, v28
	s_delay_alu instid0(VALU_DEP_2) | instskip(NEXT) | instid1(VALU_DEP_2)
	v_and_b32_e32 v29, 0xff, v4
	v_mul_u32_u24_e32 v28, 0x82, v28
	s_delay_alu instid0(VALU_DEP_2) | instskip(NEXT) | instid1(VALU_DEP_2)
	v_mad_co_u64_u32 v[8:9], null, 0x90, v29, s[2:3]
	v_add_lshl_u32 v233, v28, v29, 4
	s_clause 0x8
	global_load_b128 v[24:27], v[8:9], off offset:32
	global_load_b128 v[44:47], v[8:9], off offset:64
	;; [unrolled: 1-line block ×4, first 2 shown]
	global_load_b128 v[4:7], v[8:9], off
	global_load_b128 v[20:23], v[8:9], off offset:16
	global_load_b128 v[16:19], v[8:9], off offset:48
	;; [unrolled: 1-line block ×4, first 2 shown]
	ds_load_b128 v[30:33], v230 offset:2496
	ds_load_b128 v[34:37], v230 offset:4160
	;; [unrolled: 1-line block ×6, first 2 shown]
	s_wait_loadcnt_dscnt 0x805
	v_mul_f64_e32 v[68:69], v[30:31], v[26:27]
	s_wait_loadcnt_dscnt 0x704
	v_mul_f64_e32 v[70:71], v[36:37], v[46:47]
	v_mul_f64_e32 v[72:73], v[34:35], v[46:47]
	s_wait_loadcnt_dscnt 0x603
	v_mul_f64_e32 v[74:75], v[52:53], v[42:43]
	s_wait_loadcnt_dscnt 0x502
	v_mul_f64_e32 v[84:85], v[56:57], v[50:51]
	v_mul_f64_e32 v[88:89], v[54:55], v[42:43]
	;; [unrolled: 1-line block ×4, first 2 shown]
	s_wait_loadcnt_dscnt 0x401
	v_mul_f64_e32 v[90:91], v[62:63], v[6:7]
	v_mul_f64_e32 v[92:93], v[60:61], v[6:7]
	v_fma_f64 v[68:69], v[32:33], v[24:25], v[68:69]
	v_fma_f64 v[70:71], v[34:35], v[44:45], -v[70:71]
	v_fma_f64 v[72:73], v[36:37], v[44:45], v[72:73]
	v_fma_f64 v[74:75], v[54:55], v[40:41], v[74:75]
	;; [unrolled: 1-line block ×3, first 2 shown]
	v_fma_f64 v[84:85], v[52:53], v[40:41], -v[88:89]
	v_fma_f64 v[38:39], v[30:31], v[24:25], -v[38:39]
	;; [unrolled: 1-line block ×3, first 2 shown]
	ds_load_b128 v[30:33], v230 offset:3328
	ds_load_b128 v[34:37], v230 offset:4992
	;; [unrolled: 1-line block ×3, first 2 shown]
	s_wait_loadcnt_dscnt 0x303
	v_mul_f64_e32 v[86:87], v[66:67], v[22:23]
	v_mul_f64_e32 v[88:89], v[64:65], v[22:23]
	v_fma_f64 v[60:61], v[60:61], v[4:5], -v[90:91]
	v_fma_f64 v[62:63], v[62:63], v[4:5], v[92:93]
	s_wait_loadcnt_dscnt 0x202
	v_mul_f64_e32 v[94:95], v[32:33], v[18:19]
	v_mul_f64_e32 v[96:97], v[30:31], v[18:19]
	s_wait_loadcnt_dscnt 0x101
	v_mul_f64_e32 v[98:99], v[36:37], v[14:15]
	s_wait_loadcnt_dscnt 0x0
	v_mul_f64_e32 v[100:101], v[54:55], v[10:11]
	v_mul_f64_e32 v[102:103], v[34:35], v[14:15]
	;; [unrolled: 1-line block ×3, first 2 shown]
	v_add_f64_e64 v[122:123], v[68:69], -v[72:73]
	v_add_f64_e32 v[90:91], v[72:73], v[74:75]
	v_add_f64_e32 v[92:93], v[68:69], v[58:59]
	;; [unrolled: 1-line block ×3, first 2 shown]
	v_add_f64_e64 v[114:115], v[38:39], -v[70:71]
	v_add_f64_e32 v[106:107], v[38:39], v[56:57]
	v_add_f64_e64 v[116:117], v[56:57], -v[84:85]
	v_fma_f64 v[64:65], v[64:65], v[20:21], -v[86:87]
	v_fma_f64 v[66:67], v[66:67], v[20:21], v[88:89]
	v_add_f64_e64 v[118:119], v[70:71], -v[38:39]
	v_add_f64_e64 v[120:121], v[84:85], -v[56:57]
	;; [unrolled: 1-line block ×5, first 2 shown]
	v_fma_f64 v[86:87], v[30:31], v[16:17], -v[94:95]
	v_fma_f64 v[88:89], v[32:33], v[16:17], v[96:97]
	v_fma_f64 v[34:35], v[34:35], v[12:13], -v[98:99]
	v_fma_f64 v[52:53], v[52:53], v[8:9], -v[100:101]
	v_fma_f64 v[36:37], v[36:37], v[12:13], v[102:103]
	v_fma_f64 v[54:55], v[54:55], v[8:9], v[104:105]
	v_add_f64_e64 v[94:95], v[68:69], -v[58:59]
	v_add_f64_e64 v[98:99], v[38:39], -v[56:57]
	;; [unrolled: 1-line block ×4, first 2 shown]
	ds_load_b128 v[30:33], v230
	v_add_f64_e32 v[38:39], v[60:61], v[38:39]
	global_wb scope:SCOPE_SE
	s_wait_dscnt 0x0
	s_barrier_signal -1
	s_barrier_wait -1
	v_fma_f64 v[90:91], v[90:91], -0.5, v[62:63]
	v_fma_f64 v[92:93], v[92:93], -0.5, v[62:63]
	;; [unrolled: 1-line block ×3, first 2 shown]
	global_inv scope:SCOPE_SE
	v_fma_f64 v[102:103], v[106:107], -0.5, v[60:61]
	v_add_f64_e32 v[60:61], v[62:63], v[68:69]
	v_add_f64_e32 v[139:140], v[30:31], v[64:65]
	;; [unrolled: 1-line block ×7, first 2 shown]
	v_add_f64_e64 v[141:142], v[66:67], -v[54:55]
	v_add_f64_e64 v[147:148], v[64:65], -v[52:53]
	;; [unrolled: 1-line block ×4, first 2 shown]
	v_add_f64_e32 v[38:39], v[38:39], v[70:71]
	v_fma_f64 v[130:131], v[98:99], s[0:1], v[90:91]
	v_fma_f64 v[133:134], v[100:101], s[10:11], v[92:93]
	;; [unrolled: 1-line block ×8, first 2 shown]
	v_add_f64_e32 v[60:61], v[60:61], v[72:73]
	v_fma_f64 v[62:63], v[106:107], -0.5, v[30:31]
	v_fma_f64 v[30:31], v[108:109], -0.5, v[30:31]
	;; [unrolled: 1-line block ×4, first 2 shown]
	v_add_f64_e32 v[106:107], v[114:115], v[116:117]
	v_add_f64_e32 v[108:109], v[118:119], v[120:121]
	;; [unrolled: 1-line block ×4, first 2 shown]
	v_add_f64_e64 v[122:123], v[54:55], -v[36:37]
	v_add_f64_e64 v[124:125], v[36:37], -v[54:55]
	v_add_f64_e32 v[38:39], v[38:39], v[84:85]
	s_wait_alu 0xfffe
	v_fma_f64 v[114:115], v[100:101], s[14:15], v[130:131]
	v_fma_f64 v[116:117], v[98:99], s[14:15], v[133:134]
	;; [unrolled: 1-line block ×8, first 2 shown]
	v_add_f64_e64 v[98:99], v[64:65], -v[86:87]
	v_add_f64_e64 v[64:65], v[86:87], -v[64:65]
	;; [unrolled: 1-line block ×4, first 2 shown]
	v_add_f64_e32 v[86:87], v[139:140], v[86:87]
	v_add_f64_e32 v[88:89], v[145:146], v[88:89]
	v_add_f64_e64 v[100:101], v[52:53], -v[34:35]
	v_add_f64_e64 v[102:103], v[34:35], -v[52:53]
	v_add_f64_e32 v[60:61], v[60:61], v[74:75]
	v_fma_f64 v[70:71], v[141:142], s[10:11], v[62:63]
	v_fma_f64 v[72:73], v[143:144], s[0:1], v[30:31]
	;; [unrolled: 1-line block ×8, first 2 shown]
	v_add_f64_e32 v[38:39], v[38:39], v[56:57]
	v_fma_f64 v[114:115], v[110:111], s[18:19], v[114:115]
	v_fma_f64 v[116:117], v[112:113], s[18:19], v[116:117]
	;; [unrolled: 1-line block ×8, first 2 shown]
	v_add_f64_e32 v[66:67], v[66:67], v[124:125]
	v_add_f64_e32 v[34:35], v[86:87], v[34:35]
	;; [unrolled: 1-line block ×6, first 2 shown]
	v_fma_f64 v[70:71], v[143:144], s[16:17], v[70:71]
	v_fma_f64 v[72:73], v[141:142], s[16:17], v[72:73]
	;; [unrolled: 1-line block ×8, first 2 shown]
	v_mul_f64_e32 v[86:87], s[16:17], v[114:115]
	v_mul_f64_e32 v[88:89], s[10:11], v[116:117]
	;; [unrolled: 1-line block ×8, first 2 shown]
	v_add_f64_e32 v[34:35], v[34:35], v[52:53]
	v_add_f64_e32 v[36:37], v[36:37], v[54:55]
	v_add_f64_e32 v[52:53], v[60:61], v[58:59]
	v_fma_f64 v[70:71], v[98:99], s[18:19], v[70:71]
	v_fma_f64 v[72:73], v[64:65], s[18:19], v[72:73]
	;; [unrolled: 1-line block ×10, first 2 shown]
	v_fma_f64 v[88:89], v[90:91], s[16:17], -v[104:105]
	v_fma_f64 v[90:91], v[114:115], s[20:21], v[106:107]
	v_fma_f64 v[86:87], v[92:93], s[10:11], -v[102:103]
	v_fma_f64 v[92:93], v[116:117], s[18:19], v[108:109]
	v_fma_f64 v[94:95], v[118:119], s[0:1], -v[110:111]
	v_fma_f64 v[102:103], v[120:121], s[14:15], -v[112:113]
	v_cmp_gt_u16_e64 s0, 26, v231
	v_add_f64_e32 v[30:31], v[34:35], v[38:39]
	v_add_f64_e64 v[34:35], v[34:35], -v[38:39]
	v_add_f64_e32 v[32:33], v[36:37], v[52:53]
	v_add_f64_e64 v[36:37], v[36:37], -v[52:53]
	v_add_f64_e32 v[52:53], v[70:71], v[68:69]
	v_add_f64_e32 v[56:57], v[72:73], v[84:85]
	;; [unrolled: 1-line block ×8, first 2 shown]
	v_add_f64_e64 v[68:69], v[70:71], -v[68:69]
	v_add_f64_e64 v[70:71], v[74:75], -v[90:91]
	;; [unrolled: 1-line block ×8, first 2 shown]
	ds_store_b128 v233, v[30:33]
	ds_store_b128 v233, v[52:55] offset:208
	ds_store_b128 v233, v[56:59] offset:416
	;; [unrolled: 1-line block ×9, first 2 shown]
	global_wb scope:SCOPE_SE
	s_wait_dscnt 0x0
	s_barrier_signal -1
	s_barrier_wait -1
	global_inv scope:SCOPE_SE
	ds_load_b128 v[88:91], v230
	ds_load_b128 v[92:95], v230 offset:832
	ds_load_b128 v[112:115], v230 offset:2080
	ds_load_b128 v[100:103], v230 offset:2912
	ds_load_b128 v[116:119], v230 offset:4160
	ds_load_b128 v[104:107], v230 offset:4992
	ds_load_b128 v[120:123], v230 offset:6240
	ds_load_b128 v[108:111], v230 offset:7072
	s_and_saveexec_b32 s1, s0
	s_cbranch_execz .LBB0_9
; %bb.8:
	ds_load_b128 v[84:87], v230 offset:1664
	ds_load_b128 v[96:99], v230 offset:3744
	;; [unrolled: 1-line block ×4, first 2 shown]
.LBB0_9:
	s_wait_alu 0xfffe
	s_or_b32 exec_lo, exec_lo, s1
	v_add_nc_u32_e32 v30, 0x68, v231
	v_subrev_nc_u32_e32 v31, 26, v231
	v_mad_co_u64_u32 v[28:29], null, v231, 48, s[2:3]
	s_clause 0x1
	global_load_b128 v[52:55], v[28:29], off offset:1888
	global_load_b128 v[68:71], v[28:29], off offset:1872
	v_cndmask_b32_e64 v30, v31, v30, s0
	s_clause 0x1
	global_load_b128 v[64:67], v[28:29], off offset:1904
	global_load_b128 v[60:63], v[28:29], off offset:4368
	v_mul_i32_i24_e32 v31, 48, v30
	v_mul_hi_i32_i24_e32 v32, 48, v30
	s_delay_alu instid0(VALU_DEP_2) | instskip(SKIP_1) | instid1(VALU_DEP_2)
	v_add_co_u32 v30, s1, s2, v31
	s_wait_alu 0xf1ff
	v_add_co_ci_u32_e64 v31, s1, s3, v32, s1
	s_clause 0x4
	global_load_b128 v[72:75], v[28:29], off offset:4384
	global_load_b128 v[56:59], v[28:29], off offset:4400
	;; [unrolled: 1-line block ×5, first 2 shown]
	s_wait_loadcnt_dscnt 0x803
	v_mul_f64_e32 v[128:129], v[118:119], v[54:55]
	s_wait_loadcnt 0x7
	v_mul_f64_e32 v[124:125], v[114:115], v[70:71]
	v_mul_f64_e32 v[126:127], v[112:113], v[70:71]
	;; [unrolled: 1-line block ×3, first 2 shown]
	s_wait_loadcnt_dscnt 0x601
	v_mul_f64_e32 v[133:134], v[122:123], v[66:67]
	v_mul_f64_e32 v[135:136], v[120:121], v[66:67]
	s_wait_loadcnt 0x5
	v_mul_f64_e32 v[137:138], v[102:103], v[62:63]
	v_mul_f64_e32 v[139:140], v[100:101], v[62:63]
	s_wait_loadcnt 0x4
	v_mul_f64_e32 v[141:142], v[106:107], v[74:75]
	v_mul_f64_e32 v[143:144], v[104:105], v[74:75]
	s_wait_loadcnt_dscnt 0x300
	v_mul_f64_e32 v[145:146], v[110:111], v[58:59]
	v_mul_f64_e32 v[147:148], v[108:109], v[58:59]
	s_wait_loadcnt 0x2
	v_mul_f64_e32 v[149:150], v[98:99], v[38:39]
	v_mul_f64_e32 v[151:152], v[96:97], v[38:39]
	s_wait_loadcnt 0x1
	;; [unrolled: 3-line block ×3, first 2 shown]
	v_mul_f64_e32 v[157:158], v[82:83], v[30:31]
	v_mul_f64_e32 v[159:160], v[80:81], v[30:31]
	v_fma_f64 v[116:117], v[116:117], v[52:53], -v[128:129]
	v_fma_f64 v[112:113], v[112:113], v[68:69], -v[124:125]
	v_fma_f64 v[114:115], v[114:115], v[68:69], v[126:127]
	v_fma_f64 v[118:119], v[118:119], v[52:53], v[130:131]
	v_fma_f64 v[120:121], v[120:121], v[64:65], -v[133:134]
	v_fma_f64 v[122:123], v[122:123], v[64:65], v[135:136]
	v_fma_f64 v[100:101], v[100:101], v[60:61], -v[137:138]
	;; [unrolled: 2-line block ×7, first 2 shown]
	v_fma_f64 v[82:83], v[82:83], v[28:29], v[159:160]
	v_add_f64_e64 v[116:117], v[88:89], -v[116:117]
	v_add_f64_e64 v[118:119], v[90:91], -v[118:119]
	;; [unrolled: 1-line block ×12, first 2 shown]
	v_fma_f64 v[128:129], v[88:89], 2.0, -v[116:117]
	v_fma_f64 v[130:131], v[90:91], 2.0, -v[118:119]
	;; [unrolled: 1-line block ×4, first 2 shown]
	v_add_f64_e64 v[120:121], v[116:117], -v[120:121]
	v_add_f64_e32 v[122:123], v[118:119], v[124:125]
	v_fma_f64 v[135:136], v[92:93], 2.0, -v[126:127]
	v_fma_f64 v[137:138], v[94:95], 2.0, -v[133:134]
	;; [unrolled: 1-line block ×4, first 2 shown]
	v_add_f64_e64 v[104:105], v[126:127], -v[104:105]
	v_add_f64_e32 v[106:107], v[133:134], v[106:107]
	v_fma_f64 v[100:101], v[84:85], 2.0, -v[76:77]
	v_fma_f64 v[102:103], v[86:87], 2.0, -v[78:79]
	;; [unrolled: 1-line block ×4, first 2 shown]
	v_add_f64_e64 v[112:113], v[128:129], -v[88:89]
	v_add_f64_e64 v[114:115], v[130:131], -v[90:91]
	;; [unrolled: 1-line block ×3, first 2 shown]
	v_add_f64_e32 v[90:91], v[78:79], v[80:81]
	v_fma_f64 v[116:117], v[116:117], 2.0, -v[120:121]
	v_fma_f64 v[118:119], v[118:119], 2.0, -v[122:123]
	v_add_f64_e64 v[108:109], v[135:136], -v[92:93]
	v_add_f64_e64 v[110:111], v[137:138], -v[94:95]
	v_fma_f64 v[124:125], v[126:127], 2.0, -v[104:105]
	v_fma_f64 v[126:127], v[133:134], 2.0, -v[106:107]
	v_add_f64_e64 v[92:93], v[100:101], -v[84:85]
	v_add_f64_e64 v[94:95], v[102:103], -v[86:87]
	v_fma_f64 v[84:85], v[128:129], 2.0, -v[112:113]
	v_fma_f64 v[86:87], v[130:131], 2.0, -v[114:115]
	;; [unrolled: 1-line block ×6, first 2 shown]
	ds_store_b128 v230, v[84:87]
	ds_store_b128 v230, v[128:131] offset:832
	ds_store_b128 v230, v[116:119] offset:2080
	;; [unrolled: 1-line block ×7, first 2 shown]
	v_fma_f64 v[100:101], v[100:101], 2.0, -v[92:93]
	v_fma_f64 v[102:103], v[102:103], 2.0, -v[94:95]
	s_and_saveexec_b32 s1, s0
	s_cbranch_execz .LBB0_11
; %bb.10:
	ds_store_b128 v230, v[100:103] offset:1664
	ds_store_b128 v230, v[96:99] offset:3744
	;; [unrolled: 1-line block ×4, first 2 shown]
.LBB0_11:
	s_wait_alu 0xfffe
	s_or_b32 exec_lo, exec_lo, s1
	global_wb scope:SCOPE_SE
	s_wait_dscnt 0x0
	s_barrier_signal -1
	s_barrier_wait -1
	global_inv scope:SCOPE_SE
	s_and_saveexec_b32 s1, vcc_lo
	s_cbranch_execz .LBB0_13
; %bb.12:
	global_load_b128 v[76:79], v230, s[12:13] offset:8320
	s_add_nc_u64 s[2:3], s[12:13], 0x2080
	s_clause 0x3
	global_load_b128 v[80:83], v230, s[2:3] offset:640
	global_load_b128 v[133:136], v230, s[2:3] offset:1280
	;; [unrolled: 1-line block ×4, first 2 shown]
	ds_load_b128 v[145:148], v230
	ds_load_b128 v[149:152], v230 offset:640
	ds_load_b128 v[153:156], v230 offset:7680
	s_wait_loadcnt_dscnt 0x301
	v_mul_f64_e32 v[161:162], v[151:152], v[82:83]
	v_mul_f64_e32 v[157:158], v[147:148], v[78:79]
	;; [unrolled: 1-line block ×4, first 2 shown]
	s_delay_alu instid0(VALU_DEP_4) | instskip(NEXT) | instid1(VALU_DEP_4)
	v_fma_f64 v[149:150], v[149:150], v[80:81], -v[161:162]
	v_fma_f64 v[145:146], v[145:146], v[76:77], -v[157:158]
	s_delay_alu instid0(VALU_DEP_4)
	v_fma_f64 v[147:148], v[147:148], v[76:77], v[78:79]
	ds_load_b128 v[76:79], v230 offset:1280
	ds_load_b128 v[157:160], v230 offset:1920
	v_fma_f64 v[151:152], v[151:152], v[80:81], v[82:83]
	s_wait_loadcnt_dscnt 0x201
	v_mul_f64_e32 v[80:81], v[78:79], v[135:136]
	v_mul_f64_e32 v[82:83], v[76:77], v[135:136]
	s_wait_loadcnt_dscnt 0x100
	v_mul_f64_e32 v[161:162], v[159:160], v[139:140]
	v_mul_f64_e32 v[139:140], v[157:158], v[139:140]
	s_delay_alu instid0(VALU_DEP_4) | instskip(NEXT) | instid1(VALU_DEP_4)
	v_fma_f64 v[76:77], v[76:77], v[133:134], -v[80:81]
	v_fma_f64 v[78:79], v[78:79], v[133:134], v[82:83]
	ds_load_b128 v[133:136], v230 offset:2560
	global_load_b128 v[80:83], v230, s[2:3] offset:3200
	v_fma_f64 v[157:158], v[157:158], v[137:138], -v[161:162]
	v_fma_f64 v[159:160], v[159:160], v[137:138], v[139:140]
	ds_load_b128 v[137:140], v230 offset:3200
	s_wait_loadcnt_dscnt 0x101
	v_mul_f64_e32 v[161:162], v[135:136], v[143:144]
	v_mul_f64_e32 v[143:144], v[133:134], v[143:144]
	s_delay_alu instid0(VALU_DEP_2) | instskip(NEXT) | instid1(VALU_DEP_2)
	v_fma_f64 v[133:134], v[133:134], v[141:142], -v[161:162]
	v_fma_f64 v[135:136], v[135:136], v[141:142], v[143:144]
	global_load_b128 v[141:144], v230, s[2:3] offset:3840
	s_wait_loadcnt_dscnt 0x100
	v_mul_f64_e32 v[161:162], v[139:140], v[82:83]
	v_mul_f64_e32 v[82:83], v[137:138], v[82:83]
	s_delay_alu instid0(VALU_DEP_2) | instskip(NEXT) | instid1(VALU_DEP_2)
	v_fma_f64 v[137:138], v[137:138], v[80:81], -v[161:162]
	v_fma_f64 v[139:140], v[139:140], v[80:81], v[82:83]
	ds_load_b128 v[80:83], v230 offset:3840
	ds_load_b128 v[161:164], v230 offset:4480
	s_wait_loadcnt_dscnt 0x1
	v_mul_f64_e32 v[165:166], v[82:83], v[143:144]
	v_mul_f64_e32 v[143:144], v[80:81], v[143:144]
	s_delay_alu instid0(VALU_DEP_2) | instskip(NEXT) | instid1(VALU_DEP_2)
	v_fma_f64 v[80:81], v[80:81], v[141:142], -v[165:166]
	v_fma_f64 v[82:83], v[82:83], v[141:142], v[143:144]
	s_clause 0x1
	global_load_b128 v[141:144], v230, s[2:3] offset:4480
	global_load_b128 v[165:168], v230, s[2:3] offset:5120
	s_wait_loadcnt_dscnt 0x100
	v_mul_f64_e32 v[169:170], v[163:164], v[143:144]
	v_mul_f64_e32 v[143:144], v[161:162], v[143:144]
	s_delay_alu instid0(VALU_DEP_2) | instskip(NEXT) | instid1(VALU_DEP_2)
	v_fma_f64 v[161:162], v[161:162], v[141:142], -v[169:170]
	v_fma_f64 v[163:164], v[163:164], v[141:142], v[143:144]
	ds_load_b128 v[141:144], v230 offset:5120
	ds_load_b128 v[169:172], v230 offset:5760
	s_wait_loadcnt_dscnt 0x1
	v_mul_f64_e32 v[173:174], v[143:144], v[167:168]
	v_mul_f64_e32 v[167:168], v[141:142], v[167:168]
	s_delay_alu instid0(VALU_DEP_2) | instskip(NEXT) | instid1(VALU_DEP_2)
	v_fma_f64 v[141:142], v[141:142], v[165:166], -v[173:174]
	v_fma_f64 v[143:144], v[143:144], v[165:166], v[167:168]
	s_clause 0x1
	global_load_b128 v[165:168], v230, s[2:3] offset:5760
	;; [unrolled: 17-line block ×3, first 2 shown]
	global_load_b128 v[185:188], v230, s[2:3] offset:7680
	s_wait_loadcnt_dscnt 0x100
	v_mul_f64_e32 v[165:166], v[183:184], v[177:178]
	v_mul_f64_e32 v[179:180], v[181:182], v[177:178]
	s_delay_alu instid0(VALU_DEP_2) | instskip(NEXT) | instid1(VALU_DEP_2)
	v_fma_f64 v[177:178], v[181:182], v[175:176], -v[165:166]
	v_fma_f64 v[179:180], v[183:184], v[175:176], v[179:180]
	s_wait_loadcnt 0x0
	v_mul_f64_e32 v[165:166], v[155:156], v[187:188]
	v_mul_f64_e32 v[175:176], v[153:154], v[187:188]
	s_delay_alu instid0(VALU_DEP_2) | instskip(NEXT) | instid1(VALU_DEP_2)
	v_fma_f64 v[153:154], v[153:154], v[185:186], -v[165:166]
	v_fma_f64 v[155:156], v[155:156], v[185:186], v[175:176]
	ds_store_b128 v230, v[145:148]
	ds_store_b128 v230, v[149:152] offset:640
	ds_store_b128 v230, v[76:79] offset:1280
	;; [unrolled: 1-line block ×12, first 2 shown]
.LBB0_13:
	s_wait_alu 0xfffe
	s_or_b32 exec_lo, exec_lo, s1
	global_wb scope:SCOPE_SE
	s_wait_dscnt 0x0
	s_barrier_signal -1
	s_barrier_wait -1
	global_inv scope:SCOPE_SE
	s_and_saveexec_b32 s1, vcc_lo
	s_cbranch_execz .LBB0_15
; %bb.14:
	ds_load_b128 v[84:87], v230
	ds_load_b128 v[116:119], v230 offset:640
	ds_load_b128 v[112:115], v230 offset:1280
	;; [unrolled: 1-line block ×12, first 2 shown]
.LBB0_15:
	s_wait_alu 0xfffe
	s_or_b32 exec_lo, exec_lo, s1
	s_wait_dscnt 0x0
	v_add_f64_e64 v[193:194], v[118:119], -v[2:3]
	v_add_f64_e32 v[197:198], v[2:3], v[118:119]
	s_mov_b32 s2, 0x1ea71119
	s_mov_b32 s14, 0x42a4c3d2
	;; [unrolled: 1-line block ×8, first 2 shown]
	v_add_f64_e32 v[189:190], v[0:1], v[116:117]
	v_add_f64_e64 v[199:200], v[116:117], -v[0:1]
	v_add_f64_e64 v[137:138], v[114:115], -v[90:91]
	v_add_f64_e32 v[133:134], v[90:91], v[114:115]
	s_mov_b32 s16, 0xb2365da1
	s_mov_b32 s22, 0x2ef20147
	;; [unrolled: 1-line block ×8, first 2 shown]
	v_add_f64_e32 v[135:136], v[88:89], v[112:113]
	v_add_f64_e64 v[139:140], v[112:113], -v[88:89]
	v_add_f64_e64 v[145:146], v[122:123], -v[94:95]
	v_add_f64_e32 v[141:142], v[122:123], v[94:95]
	s_mov_b32 s35, 0x3fedeba7
	s_wait_alu 0xfffe
	s_mov_b32 s34, s22
	v_add_f64_e32 v[143:144], v[120:121], v[92:93]
	v_add_f64_e64 v[149:150], v[120:121], -v[92:93]
	v_add_f64_e32 v[147:148], v[130:131], v[98:99]
	v_add_f64_e64 v[153:154], v[130:131], -v[98:99]
	s_mov_b32 s26, 0xd0032e0c
	s_mov_b32 s30, 0x24c2f84
	;; [unrolled: 1-line block ×6, first 2 shown]
	v_mul_f64_e32 v[217:218], s[14:15], v[193:194]
	v_mul_f64_e32 v[221:222], s[2:3], v[197:198]
	;; [unrolled: 1-line block ×4, first 2 shown]
	s_mov_b32 s41, 0x3fddbe06
	s_mov_b32 s40, 0x4267c47c
	v_add_f64_e32 v[151:152], v[128:129], v[96:97]
	v_add_f64_e64 v[155:156], v[128:129], -v[96:97]
	v_add_f64_e32 v[157:158], v[102:103], v[126:127]
	v_add_f64_e64 v[161:162], v[126:127], -v[102:103]
	s_mov_b32 s39, 0x3fefc445
	s_mov_b32 s38, s20
	v_mul_f64_e32 v[175:176], s[22:23], v[137:138]
	v_mul_f64_e32 v[179:180], s[16:17], v[133:134]
	;; [unrolled: 1-line block ×4, first 2 shown]
	v_add_f64_e64 v[173:174], v[110:111], -v[106:107]
	s_mov_b32 s37, 0xbfe5384d
	s_wait_alu 0xfffe
	s_mov_b32 s36, s30
	global_wb scope:SCOPE_SE
	s_barrier_signal -1
	s_barrier_wait -1
	global_inv scope:SCOPE_SE
	v_mul_f64_e32 v[185:186], s[24:25], v[145:146]
	v_mul_f64_e32 v[187:188], s[18:19], v[141:142]
	;; [unrolled: 1-line block ×8, first 2 shown]
	v_fma_f64 v[76:77], v[189:190], s[2:3], -v[217:218]
	v_fma_f64 v[78:79], v[199:200], s[14:15], v[221:222]
	v_fma_f64 v[80:81], v[189:190], s[10:11], -v[223:224]
	v_fma_f64 v[82:83], v[199:200], s[20:21], v[227:228]
	v_mul_f64_e32 v[215:216], s[10:11], v[157:158]
	v_mul_f64_e32 v[213:214], s[38:39], v[161:162]
	;; [unrolled: 1-line block ×4, first 2 shown]
	v_fma_f64 v[159:160], v[135:136], s[16:17], -v[175:176]
	v_fma_f64 v[163:164], v[139:140], s[22:23], v[179:180]
	v_fma_f64 v[167:168], v[135:136], s[18:19], -v[165:166]
	v_fma_f64 v[171:172], v[139:140], s[24:25], v[169:170]
	;; [unrolled: 2-line block ×4, first 2 shown]
	v_fma_f64 v[236:237], v[155:156], s[30:31], v[205:206]
	v_fma_f64 v[234:235], v[151:152], s[26:27], -v[201:202]
	v_fma_f64 v[238:239], v[151:152], s[28:29], -v[191:192]
	v_fma_f64 v[240:241], v[155:156], s[40:41], v[195:196]
	v_add_f64_e32 v[76:77], v[84:85], v[76:77]
	v_add_f64_e32 v[78:79], v[86:87], v[78:79]
	;; [unrolled: 1-line block ×4, first 2 shown]
	s_delay_alu instid0(VALU_DEP_4) | instskip(NEXT) | instid1(VALU_DEP_4)
	v_add_f64_e32 v[76:77], v[159:160], v[76:77]
	v_add_f64_e32 v[78:79], v[163:164], v[78:79]
	s_delay_alu instid0(VALU_DEP_4) | instskip(NEXT) | instid1(VALU_DEP_4)
	v_add_f64_e32 v[80:81], v[167:168], v[80:81]
	v_add_f64_e32 v[82:83], v[171:172], v[82:83]
	;; [unrolled: 1-line block ×3, first 2 shown]
	v_add_f64_e64 v[167:168], v[124:125], -v[100:101]
	v_add_f64_e32 v[163:164], v[106:107], v[110:111]
	v_add_f64_e32 v[171:172], v[104:105], v[108:109]
	;; [unrolled: 1-line block ×6, first 2 shown]
	v_add_f64_e64 v[177:178], v[108:109], -v[104:105]
	v_mul_f64_e32 v[219:220], s[40:41], v[173:174]
	v_mul_f64_e32 v[225:226], s[28:29], v[163:164]
	s_wait_alu 0xfffe
	v_mul_f64_e32 v[209:210], s[36:37], v[173:174]
	v_mul_f64_e32 v[211:212], s[26:27], v[163:164]
	v_fma_f64 v[242:243], v[159:160], s[10:11], -v[213:214]
	v_fma_f64 v[244:245], v[167:168], s[38:39], v[215:216]
	v_fma_f64 v[246:247], v[159:160], s[2:3], -v[203:204]
	v_fma_f64 v[248:249], v[167:168], s[14:15], v[207:208]
	v_add_f64_e32 v[76:77], v[234:235], v[76:77]
	v_add_f64_e32 v[78:79], v[236:237], v[78:79]
	;; [unrolled: 1-line block ×4, first 2 shown]
	v_fma_f64 v[234:235], v[171:172], s[28:29], -v[219:220]
	v_fma_f64 v[236:237], v[177:178], s[40:41], v[225:226]
	v_fma_f64 v[238:239], v[171:172], s[26:27], -v[209:210]
	v_fma_f64 v[240:241], v[177:178], s[36:37], v[211:212]
	v_add_f64_e32 v[76:77], v[242:243], v[76:77]
	v_add_f64_e32 v[78:79], v[244:245], v[78:79]
	;; [unrolled: 1-line block ×4, first 2 shown]
	s_delay_alu instid0(VALU_DEP_4) | instskip(NEXT) | instid1(VALU_DEP_4)
	v_add_f64_e32 v[80:81], v[234:235], v[76:77]
	v_add_f64_e32 v[82:83], v[236:237], v[78:79]
	s_delay_alu instid0(VALU_DEP_4) | instskip(NEXT) | instid1(VALU_DEP_4)
	v_add_f64_e32 v[76:77], v[238:239], v[242:243]
	v_add_f64_e32 v[78:79], v[240:241], v[244:245]
	s_and_saveexec_b32 s1, vcc_lo
	s_cbranch_execz .LBB0_17
; %bb.16:
	v_add_f64_e32 v[118:119], v[86:87], v[118:119]
	v_add_f64_e32 v[116:117], v[84:85], v[116:117]
	v_mul_f64_e32 v[240:241], s[38:39], v[177:178]
	v_mul_f64_e32 v[242:243], s[38:39], v[173:174]
	s_mov_b32 s43, 0x3fcea1e5
	s_mov_b32 s42, s24
	s_delay_alu instid0(VALU_DEP_4) | instskip(NEXT) | instid1(VALU_DEP_4)
	v_add_f64_e32 v[114:115], v[114:115], v[118:119]
	v_add_f64_e32 v[112:113], v[112:113], v[116:117]
	v_mul_f64_e32 v[116:117], s[22:23], v[199:200]
	s_delay_alu instid0(VALU_DEP_3) | instskip(NEXT) | instid1(VALU_DEP_3)
	v_add_f64_e32 v[114:115], v[122:123], v[114:115]
	v_add_f64_e32 v[112:113], v[120:121], v[112:113]
	s_delay_alu instid0(VALU_DEP_2) | instskip(NEXT) | instid1(VALU_DEP_2)
	v_add_f64_e32 v[114:115], v[130:131], v[114:115]
	v_add_f64_e32 v[112:113], v[128:129], v[112:113]
	v_mul_f64_e32 v[128:129], s[24:25], v[193:194]
	v_mul_f64_e32 v[130:131], s[36:37], v[193:194]
	s_delay_alu instid0(VALU_DEP_4) | instskip(NEXT) | instid1(VALU_DEP_4)
	v_add_f64_e32 v[114:115], v[126:127], v[114:115]
	v_add_f64_e32 v[112:113], v[124:125], v[112:113]
	v_fma_f64 v[124:125], v[197:198], s[16:17], v[116:117]
	v_fma_f64 v[116:117], v[197:198], s[16:17], -v[116:117]
	s_delay_alu instid0(VALU_DEP_4) | instskip(NEXT) | instid1(VALU_DEP_4)
	v_add_f64_e32 v[110:111], v[110:111], v[114:115]
	v_add_f64_e32 v[108:109], v[108:109], v[112:113]
	v_mul_f64_e32 v[112:113], s[40:41], v[149:150]
	v_mul_f64_e32 v[114:115], s[40:41], v[145:146]
	v_add_f64_e32 v[124:125], v[86:87], v[124:125]
	v_add_f64_e32 v[116:117], v[86:87], v[116:117]
	;; [unrolled: 1-line block ×4, first 2 shown]
	v_mul_f64_e32 v[108:109], s[24:25], v[199:200]
	v_mul_f64_e32 v[110:111], s[36:37], v[199:200]
	s_delay_alu instid0(VALU_DEP_4) | instskip(NEXT) | instid1(VALU_DEP_4)
	v_add_f64_e32 v[102:103], v[102:103], v[106:107]
	v_add_f64_e32 v[100:101], v[100:101], v[104:105]
	v_mul_f64_e32 v[104:105], s[40:41], v[155:156]
	v_mul_f64_e32 v[106:107], s[40:41], v[161:162]
	v_fma_f64 v[120:121], v[197:198], s[18:19], v[108:109]
	v_fma_f64 v[108:109], v[197:198], s[18:19], -v[108:109]
	v_fma_f64 v[122:123], v[197:198], s[26:27], v[110:111]
	v_fma_f64 v[110:111], v[197:198], s[26:27], -v[110:111]
	v_add_f64_e32 v[98:99], v[98:99], v[102:103]
	v_add_f64_e32 v[96:97], v[96:97], v[100:101]
	v_mul_f64_e32 v[100:101], s[40:41], v[177:178]
	v_mul_f64_e32 v[102:103], s[40:41], v[167:168]
	v_add_f64_e32 v[120:121], v[86:87], v[120:121]
	v_add_f64_e32 v[108:109], v[86:87], v[108:109]
	;; [unrolled: 1-line block ×4, first 2 shown]
	v_add_f64_e64 v[104:105], v[195:196], -v[104:105]
	v_add_f64_e32 v[94:95], v[94:95], v[98:99]
	v_add_f64_e32 v[92:93], v[92:93], v[96:97]
	v_mul_f64_e32 v[96:97], s[40:41], v[139:140]
	v_mul_f64_e32 v[98:99], s[40:41], v[137:138]
	s_mov_b32 s41, 0xbfddbe06
	v_add_f64_e64 v[100:101], v[225:226], -v[100:101]
	s_wait_alu 0xfffe
	v_mul_f64_e32 v[118:119], s[40:41], v[199:200]
	v_add_f64_e32 v[90:91], v[90:91], v[94:95]
	v_add_f64_e32 v[88:89], v[88:89], v[92:93]
	v_mul_f64_e32 v[92:93], s[14:15], v[199:200]
	v_mul_f64_e32 v[94:95], s[2:3], v[189:190]
	v_fma_f64 v[126:127], v[197:198], s[28:29], v[118:119]
	v_fma_f64 v[118:119], v[197:198], s[28:29], -v[118:119]
	v_mul_f64_e32 v[197:198], s[22:23], v[193:194]
	v_mul_f64_e32 v[193:194], s[40:41], v[193:194]
	s_mov_b32 s41, 0x3fea55e2
	s_mov_b32 s40, s14
	v_add_f64_e32 v[2:3], v[2:3], v[90:91]
	v_add_f64_e32 v[0:1], v[0:1], v[88:89]
	v_mul_f64_e32 v[88:89], s[20:21], v[199:200]
	v_mul_f64_e32 v[90:91], s[10:11], v[189:190]
	v_add_f64_e64 v[92:93], v[221:222], -v[92:93]
	v_add_f64_e32 v[94:95], v[94:95], v[217:218]
	v_fma_f64 v[199:200], v[189:190], s[18:19], -v[128:129]
	v_fma_f64 v[128:129], v[189:190], s[18:19], v[128:129]
	v_fma_f64 v[217:218], v[189:190], s[26:27], -v[130:131]
	v_fma_f64 v[130:131], v[189:190], s[26:27], v[130:131]
	;; [unrolled: 2-line block ×3, first 2 shown]
	v_add_f64_e32 v[126:127], v[86:87], v[126:127]
	v_add_f64_e32 v[118:119], v[86:87], v[118:119]
	v_add_f64_e64 v[88:89], v[227:228], -v[88:89]
	v_add_f64_e32 v[90:91], v[90:91], v[223:224]
	v_fma_f64 v[223:224], v[189:190], s[28:29], -v[193:194]
	v_fma_f64 v[189:190], v[189:190], s[28:29], v[193:194]
	v_add_f64_e32 v[193:194], v[84:85], v[199:200]
	v_add_f64_e32 v[128:129], v[84:85], v[128:129]
	;; [unrolled: 1-line block ×12, first 2 shown]
	v_fma_f64 v[84:85], v[133:134], s[28:29], v[96:97]
	v_mul_f64_e32 v[88:89], s[36:37], v[149:150]
	v_fma_f64 v[86:87], v[135:136], s[28:29], -v[98:99]
	v_fma_f64 v[96:97], v[133:134], s[28:29], -v[96:97]
	v_fma_f64 v[98:99], v[135:136], s[28:29], v[98:99]
	v_add_f64_e32 v[84:85], v[84:85], v[120:121]
	v_fma_f64 v[90:91], v[141:142], s[26:27], v[88:89]
	v_add_f64_e32 v[86:87], v[86:87], v[193:194]
	v_add_f64_e32 v[96:97], v[96:97], v[108:109]
	v_fma_f64 v[88:89], v[141:142], s[26:27], -v[88:89]
	v_add_f64_e32 v[98:99], v[98:99], v[128:129]
	v_mul_f64_e32 v[108:109], s[14:15], v[149:150]
	v_add_f64_e32 v[84:85], v[90:91], v[84:85]
	v_mul_f64_e32 v[90:91], s[36:37], v[145:146]
	v_add_f64_e32 v[88:89], v[88:89], v[96:97]
	v_mul_f64_e32 v[96:97], s[38:39], v[139:140]
	s_delay_alu instid0(VALU_DEP_3) | instskip(SKIP_1) | instid1(VALU_DEP_2)
	v_fma_f64 v[92:93], v[143:144], s[26:27], -v[90:91]
	v_fma_f64 v[90:91], v[143:144], s[26:27], v[90:91]
	v_add_f64_e32 v[86:87], v[92:93], v[86:87]
	s_wait_alu 0xfffe
	v_mul_f64_e32 v[92:93], s[40:41], v[155:156]
	s_delay_alu instid0(VALU_DEP_3) | instskip(SKIP_1) | instid1(VALU_DEP_3)
	v_add_f64_e32 v[90:91], v[90:91], v[98:99]
	v_mul_f64_e32 v[98:99], s[38:39], v[137:138]
	v_fma_f64 v[94:95], v[147:148], s[2:3], v[92:93]
	v_fma_f64 v[92:93], v[147:148], s[2:3], -v[92:93]
	s_delay_alu instid0(VALU_DEP_2) | instskip(SKIP_1) | instid1(VALU_DEP_3)
	v_add_f64_e32 v[84:85], v[94:95], v[84:85]
	v_mul_f64_e32 v[94:95], s[40:41], v[153:154]
	v_add_f64_e32 v[88:89], v[92:93], v[88:89]
	s_delay_alu instid0(VALU_DEP_2) | instskip(SKIP_2) | instid1(VALU_DEP_3)
	v_fma_f64 v[120:121], v[151:152], s[2:3], -v[94:95]
	v_fma_f64 v[92:93], v[151:152], s[2:3], v[94:95]
	v_fma_f64 v[94:95], v[171:172], s[10:11], v[242:243]
	v_add_f64_e32 v[86:87], v[120:121], v[86:87]
	v_mul_f64_e32 v[120:121], s[22:23], v[167:168]
	s_delay_alu instid0(VALU_DEP_4) | instskip(NEXT) | instid1(VALU_DEP_2)
	v_add_f64_e32 v[90:91], v[92:93], v[90:91]
	v_fma_f64 v[193:194], v[157:158], s[16:17], v[120:121]
	v_fma_f64 v[92:93], v[157:158], s[16:17], -v[120:121]
	v_fma_f64 v[120:121], v[141:142], s[2:3], v[108:109]
	v_fma_f64 v[108:109], v[141:142], s[2:3], -v[108:109]
	s_delay_alu instid0(VALU_DEP_4) | instskip(SKIP_2) | instid1(VALU_DEP_2)
	v_add_f64_e32 v[84:85], v[193:194], v[84:85]
	v_mul_f64_e32 v[193:194], s[22:23], v[161:162]
	v_add_f64_e32 v[88:89], v[92:93], v[88:89]
	v_fma_f64 v[92:93], v[159:160], s[16:17], v[193:194]
	v_fma_f64 v[238:239], v[159:160], s[16:17], -v[193:194]
	s_delay_alu instid0(VALU_DEP_2) | instskip(SKIP_1) | instid1(VALU_DEP_3)
	v_add_f64_e32 v[92:93], v[92:93], v[90:91]
	v_fma_f64 v[90:91], v[163:164], s[10:11], -v[240:241]
	v_add_f64_e32 v[238:239], v[238:239], v[86:87]
	v_fma_f64 v[86:87], v[163:164], s[10:11], v[240:241]
	s_delay_alu instid0(VALU_DEP_3)
	v_add_f64_e32 v[90:91], v[90:91], v[88:89]
	v_add_f64_e32 v[88:89], v[94:95], v[92:93]
	v_fma_f64 v[92:93], v[133:134], s[10:11], v[96:97]
	v_fma_f64 v[94:95], v[135:136], s[10:11], -v[98:99]
	v_fma_f64 v[96:97], v[133:134], s[10:11], -v[96:97]
	v_fma_f64 v[98:99], v[135:136], s[10:11], v[98:99]
	v_add_f64_e32 v[86:87], v[86:87], v[84:85]
	v_fma_f64 v[84:85], v[171:172], s[10:11], -v[242:243]
	v_add_f64_e32 v[92:93], v[92:93], v[122:123]
	v_add_f64_e32 v[94:95], v[94:95], v[199:200]
	;; [unrolled: 1-line block ×4, first 2 shown]
	v_mul_f64_e32 v[199:200], s[22:23], v[177:178]
	v_add_f64_e32 v[84:85], v[84:85], v[238:239]
	v_mul_f64_e32 v[238:239], s[22:23], v[173:174]
	v_mul_f64_e32 v[110:111], s[16:17], v[135:136]
	;; [unrolled: 1-line block ×3, first 2 shown]
	v_add_f64_e32 v[92:93], v[120:121], v[92:93]
	v_mul_f64_e32 v[120:121], s[14:15], v[145:146]
	v_add_f64_e32 v[96:97], v[108:109], v[96:97]
	v_add_f64_e32 v[110:111], v[110:111], v[175:176]
	;; [unrolled: 1-line block ×3, first 2 shown]
	v_mul_f64_e32 v[175:176], s[40:41], v[177:178]
	v_fma_f64 v[122:123], v[143:144], s[2:3], -v[120:121]
	v_fma_f64 v[108:109], v[143:144], s[2:3], v[120:121]
	v_mul_f64_e32 v[120:121], s[30:31], v[155:156]
	v_add_f64_e32 v[110:111], v[110:111], v[236:237]
	s_delay_alu instid0(VALU_DEP_4) | instskip(SKIP_3) | instid1(VALU_DEP_3)
	v_add_f64_e32 v[94:95], v[122:123], v[94:95]
	v_mul_f64_e32 v[122:123], s[42:43], v[155:156]
	v_add_f64_e32 v[98:99], v[108:109], v[98:99]
	v_add_f64_e64 v[120:121], v[205:206], -v[120:121]
	v_fma_f64 v[128:129], v[147:148], s[18:19], v[122:123]
	v_fma_f64 v[108:109], v[147:148], s[18:19], -v[122:123]
	v_mul_f64_e32 v[122:123], s[26:27], v[151:152]
	s_delay_alu instid0(VALU_DEP_3) | instskip(SKIP_1) | instid1(VALU_DEP_4)
	v_add_f64_e32 v[92:93], v[128:129], v[92:93]
	v_mul_f64_e32 v[128:129], s[42:43], v[153:154]
	v_add_f64_e32 v[96:97], v[108:109], v[96:97]
	s_delay_alu instid0(VALU_DEP_4) | instskip(NEXT) | instid1(VALU_DEP_3)
	v_add_f64_e32 v[122:123], v[122:123], v[201:202]
	v_fma_f64 v[193:194], v[151:152], s[18:19], -v[128:129]
	v_fma_f64 v[108:109], v[151:152], s[18:19], v[128:129]
	v_mul_f64_e32 v[128:129], s[38:39], v[167:168]
	s_delay_alu instid0(VALU_DEP_3)
	v_add_f64_e32 v[94:95], v[193:194], v[94:95]
	v_fma_f64 v[193:194], v[157:158], s[28:29], v[102:103]
	v_fma_f64 v[102:103], v[157:158], s[28:29], -v[102:103]
	v_add_f64_e32 v[98:99], v[108:109], v[98:99]
	v_mul_f64_e32 v[108:109], s[18:19], v[143:144]
	v_add_f64_e64 v[128:129], v[215:216], -v[128:129]
	v_add_f64_e32 v[92:93], v[193:194], v[92:93]
	v_add_f64_e32 v[96:97], v[102:103], v[96:97]
	v_fma_f64 v[102:103], v[159:160], s[28:29], v[106:107]
	v_fma_f64 v[193:194], v[159:160], s[28:29], -v[106:107]
	v_fma_f64 v[106:107], v[171:172], s[16:17], v[238:239]
	v_add_f64_e32 v[108:109], v[108:109], v[185:186]
	s_delay_alu instid0(VALU_DEP_4) | instskip(SKIP_3) | instid1(VALU_DEP_3)
	v_add_f64_e32 v[102:103], v[102:103], v[98:99]
	v_fma_f64 v[98:99], v[163:164], s[16:17], -v[199:200]
	v_add_f64_e32 v[193:194], v[193:194], v[94:95]
	v_fma_f64 v[94:95], v[163:164], s[16:17], v[199:200]
	v_add_f64_e32 v[98:99], v[98:99], v[96:97]
	v_add_f64_e32 v[96:97], v[106:107], v[102:103]
	v_mul_f64_e32 v[106:107], s[22:23], v[139:140]
	v_mul_f64_e32 v[102:103], s[24:25], v[149:150]
	v_add_f64_e32 v[94:95], v[94:95], v[92:93]
	v_fma_f64 v[92:93], v[171:172], s[16:17], -v[238:239]
	s_delay_alu instid0(VALU_DEP_4) | instskip(NEXT) | instid1(VALU_DEP_4)
	v_add_f64_e64 v[106:107], v[179:180], -v[106:107]
	v_add_f64_e64 v[102:103], v[187:188], -v[102:103]
	v_mul_f64_e32 v[179:180], s[40:41], v[173:174]
	s_delay_alu instid0(VALU_DEP_4) | instskip(NEXT) | instid1(VALU_DEP_4)
	v_add_f64_e32 v[92:93], v[92:93], v[193:194]
	v_add_f64_e32 v[106:107], v[106:107], v[234:235]
	s_delay_alu instid0(VALU_DEP_1) | instskip(SKIP_3) | instid1(VALU_DEP_4)
	v_add_f64_e32 v[102:103], v[102:103], v[106:107]
	v_add_f64_e32 v[106:107], v[108:109], v[110:111]
	v_mul_f64_e32 v[108:109], s[10:11], v[159:160]
	v_mul_f64_e32 v[110:111], s[28:29], v[171:172]
	v_add_f64_e32 v[102:103], v[120:121], v[102:103]
	s_delay_alu instid0(VALU_DEP_4) | instskip(NEXT) | instid1(VALU_DEP_4)
	v_add_f64_e32 v[106:107], v[122:123], v[106:107]
	v_add_f64_e32 v[108:109], v[108:109], v[213:214]
	s_delay_alu instid0(VALU_DEP_4)
	v_add_f64_e32 v[110:111], v[110:111], v[219:220]
	v_mul_f64_e32 v[120:121], s[18:19], v[135:136]
	v_mul_f64_e32 v[122:123], s[28:29], v[151:152]
	v_add_f64_e32 v[102:103], v[128:129], v[102:103]
	v_mul_f64_e32 v[128:129], s[14:15], v[167:168]
	v_add_f64_e32 v[106:107], v[108:109], v[106:107]
	;; [unrolled: 2-line block ×3, first 2 shown]
	v_add_f64_e32 v[122:123], v[122:123], v[191:192]
	v_add_f64_e32 v[102:103], v[100:101], v[102:103]
	v_add_f64_e64 v[128:129], v[207:208], -v[128:129]
	v_add_f64_e32 v[100:101], v[110:111], v[106:107]
	v_mul_f64_e32 v[106:107], s[34:35], v[149:150]
	v_add_f64_e64 v[108:109], v[169:170], -v[108:109]
	v_mul_f64_e32 v[110:111], s[16:17], v[143:144]
	v_add_f64_e32 v[120:121], v[120:121], v[227:228]
	s_delay_alu instid0(VALU_DEP_4) | instskip(NEXT) | instid1(VALU_DEP_4)
	v_add_f64_e64 v[106:107], v[183:184], -v[106:107]
	v_add_f64_e32 v[108:109], v[108:109], v[221:222]
	s_delay_alu instid0(VALU_DEP_4) | instskip(NEXT) | instid1(VALU_DEP_2)
	v_add_f64_e32 v[110:111], v[110:111], v[181:182]
	v_add_f64_e32 v[106:107], v[106:107], v[108:109]
	s_delay_alu instid0(VALU_DEP_2) | instskip(SKIP_1) | instid1(VALU_DEP_3)
	v_add_f64_e32 v[108:109], v[110:111], v[120:121]
	v_mul_f64_e32 v[110:111], s[36:37], v[177:178]
	v_add_f64_e32 v[104:105], v[104:105], v[106:107]
	s_delay_alu instid0(VALU_DEP_3) | instskip(SKIP_1) | instid1(VALU_DEP_4)
	v_add_f64_e32 v[106:107], v[122:123], v[108:109]
	v_mul_f64_e32 v[108:109], s[26:27], v[171:172]
	v_add_f64_e64 v[110:111], v[211:212], -v[110:111]
	v_fma_f64 v[122:123], v[141:142], s[28:29], -v[112:113]
	v_fma_f64 v[112:113], v[141:142], s[28:29], v[112:113]
	v_add_f64_e32 v[104:105], v[128:129], v[104:105]
	v_add_f64_e32 v[120:121], v[130:131], v[106:107]
	;; [unrolled: 1-line block ×3, first 2 shown]
	s_delay_alu instid0(VALU_DEP_3) | instskip(NEXT) | instid1(VALU_DEP_2)
	v_add_f64_e32 v[106:107], v[110:111], v[104:105]
	v_add_f64_e32 v[104:105], v[108:109], v[120:121]
	v_mul_f64_e32 v[120:121], s[30:31], v[139:140]
	s_delay_alu instid0(VALU_DEP_1) | instskip(SKIP_1) | instid1(VALU_DEP_2)
	v_fma_f64 v[108:109], v[133:134], s[26:27], -v[120:121]
	v_fma_f64 v[120:121], v[133:134], s[26:27], v[120:121]
	v_add_f64_e32 v[108:109], v[108:109], v[116:117]
	v_mul_f64_e32 v[116:117], s[30:31], v[137:138]
	s_delay_alu instid0(VALU_DEP_3) | instskip(SKIP_1) | instid1(VALU_DEP_4)
	v_add_f64_e32 v[120:121], v[120:121], v[124:125]
	v_mul_f64_e32 v[124:125], s[20:21], v[149:150]
	v_add_f64_e32 v[108:109], v[122:123], v[108:109]
	s_delay_alu instid0(VALU_DEP_4)
	v_fma_f64 v[110:111], v[135:136], s[26:27], v[116:117]
	v_fma_f64 v[122:123], v[143:144], s[28:29], v[114:115]
	v_fma_f64 v[116:117], v[135:136], s[26:27], -v[116:117]
	v_fma_f64 v[114:115], v[143:144], s[28:29], -v[114:115]
	v_add_f64_e32 v[112:113], v[112:113], v[120:121]
	v_fma_f64 v[120:121], v[171:172], s[2:3], -v[179:180]
	v_add_f64_e32 v[110:111], v[110:111], v[197:198]
	v_add_f64_e32 v[116:117], v[116:117], v[217:218]
	s_delay_alu instid0(VALU_DEP_2) | instskip(SKIP_1) | instid1(VALU_DEP_3)
	v_add_f64_e32 v[110:111], v[122:123], v[110:111]
	v_mul_f64_e32 v[122:123], s[20:21], v[155:156]
	v_add_f64_e32 v[114:115], v[114:115], v[116:117]
	s_delay_alu instid0(VALU_DEP_2) | instskip(SKIP_2) | instid1(VALU_DEP_3)
	v_fma_f64 v[128:129], v[147:148], s[10:11], -v[122:123]
	v_fma_f64 v[116:117], v[147:148], s[10:11], v[122:123]
	v_mul_f64_e32 v[122:123], s[14:15], v[137:138]
	v_add_f64_e32 v[108:109], v[128:129], v[108:109]
	v_mul_f64_e32 v[128:129], s[20:21], v[153:154]
	s_delay_alu instid0(VALU_DEP_4) | instskip(NEXT) | instid1(VALU_DEP_2)
	v_add_f64_e32 v[112:113], v[116:117], v[112:113]
	v_fma_f64 v[130:131], v[151:152], s[10:11], v[128:129]
	v_fma_f64 v[116:117], v[151:152], s[10:11], -v[128:129]
	v_fma_f64 v[128:129], v[141:142], s[10:11], -v[124:125]
	v_fma_f64 v[124:125], v[141:142], s[10:11], v[124:125]
	s_delay_alu instid0(VALU_DEP_4) | instskip(SKIP_2) | instid1(VALU_DEP_2)
	v_add_f64_e32 v[110:111], v[130:131], v[110:111]
	v_mul_f64_e32 v[130:131], s[42:43], v[167:168]
	v_add_f64_e32 v[114:115], v[116:117], v[114:115]
	v_fma_f64 v[165:166], v[157:158], s[18:19], -v[130:131]
	v_fma_f64 v[116:117], v[157:158], s[18:19], v[130:131]
	s_delay_alu instid0(VALU_DEP_2) | instskip(SKIP_1) | instid1(VALU_DEP_3)
	v_add_f64_e32 v[108:109], v[165:166], v[108:109]
	v_mul_f64_e32 v[165:166], s[42:43], v[161:162]
	v_add_f64_e32 v[112:113], v[116:117], v[112:113]
	s_delay_alu instid0(VALU_DEP_2) | instskip(SKIP_1) | instid1(VALU_DEP_2)
	v_fma_f64 v[116:117], v[159:160], s[18:19], -v[165:166]
	v_fma_f64 v[169:170], v[159:160], s[18:19], v[165:166]
	v_add_f64_e32 v[116:117], v[116:117], v[114:115]
	v_fma_f64 v[114:115], v[163:164], s[2:3], v[175:176]
	s_delay_alu instid0(VALU_DEP_3) | instskip(SKIP_1) | instid1(VALU_DEP_3)
	v_add_f64_e32 v[169:170], v[169:170], v[110:111]
	v_fma_f64 v[110:111], v[163:164], s[2:3], -v[175:176]
	v_add_f64_e32 v[114:115], v[114:115], v[112:113]
	v_add_f64_e32 v[112:113], v[120:121], v[116:117]
	v_mul_f64_e32 v[120:121], s[14:15], v[139:140]
	s_delay_alu instid0(VALU_DEP_4) | instskip(SKIP_1) | instid1(VALU_DEP_3)
	v_add_f64_e32 v[110:111], v[110:111], v[108:109]
	v_fma_f64 v[108:109], v[171:172], s[2:3], v[179:180]
	v_fma_f64 v[116:117], v[133:134], s[2:3], -v[120:121]
	v_fma_f64 v[120:121], v[133:134], s[2:3], v[120:121]
	s_delay_alu instid0(VALU_DEP_3) | instskip(NEXT) | instid1(VALU_DEP_3)
	v_add_f64_e32 v[108:109], v[108:109], v[169:170]
	v_add_f64_e32 v[116:117], v[116:117], v[118:119]
	v_fma_f64 v[118:119], v[135:136], s[2:3], v[122:123]
	v_fma_f64 v[122:123], v[135:136], s[2:3], -v[122:123]
	v_add_f64_e32 v[120:121], v[120:121], v[126:127]
	s_delay_alu instid0(VALU_DEP_4) | instskip(SKIP_4) | instid1(VALU_DEP_4)
	v_add_f64_e32 v[116:117], v[128:129], v[116:117]
	v_mul_f64_e32 v[128:129], s[20:21], v[145:146]
	v_add_f64_e32 v[118:119], v[118:119], v[189:190]
	v_add_f64_e32 v[122:123], v[122:123], v[223:224]
	;; [unrolled: 1-line block ×3, first 2 shown]
	v_fma_f64 v[130:131], v[143:144], s[10:11], v[128:129]
	v_fma_f64 v[128:129], v[143:144], s[10:11], -v[128:129]
	s_delay_alu instid0(VALU_DEP_2) | instskip(SKIP_1) | instid1(VALU_DEP_3)
	v_add_f64_e32 v[118:119], v[130:131], v[118:119]
	v_mul_f64_e32 v[130:131], s[22:23], v[155:156]
	v_add_f64_e32 v[122:123], v[128:129], v[122:123]
	v_mul_f64_e32 v[155:156], s[24:25], v[173:174]
	s_delay_alu instid0(VALU_DEP_3) | instskip(SKIP_1) | instid1(VALU_DEP_2)
	v_fma_f64 v[137:138], v[147:148], s[16:17], -v[130:131]
	v_fma_f64 v[126:127], v[147:148], s[16:17], v[130:131]
	v_add_f64_e32 v[116:117], v[137:138], v[116:117]
	v_mul_f64_e32 v[137:138], s[22:23], v[153:154]
	v_mul_f64_e32 v[153:154], s[24:25], v[177:178]
	s_delay_alu instid0(VALU_DEP_4) | instskip(NEXT) | instid1(VALU_DEP_3)
	v_add_f64_e32 v[120:121], v[126:127], v[120:121]
	v_fma_f64 v[139:140], v[151:152], s[16:17], v[137:138]
	v_fma_f64 v[130:131], v[151:152], s[16:17], -v[137:138]
	s_delay_alu instid0(VALU_DEP_4) | instskip(NEXT) | instid1(VALU_DEP_3)
	v_fma_f64 v[126:127], v[163:164], s[18:19], v[153:154]
	v_add_f64_e32 v[118:119], v[139:140], v[118:119]
	v_mul_f64_e32 v[139:140], s[36:37], v[167:168]
	s_delay_alu instid0(VALU_DEP_4) | instskip(SKIP_1) | instid1(VALU_DEP_3)
	v_add_f64_e32 v[122:123], v[130:131], v[122:123]
	v_fma_f64 v[130:131], v[171:172], s[18:19], -v[155:156]
	v_fma_f64 v[145:146], v[157:158], s[26:27], -v[139:140]
	v_fma_f64 v[124:125], v[157:158], s[26:27], v[139:140]
	s_delay_alu instid0(VALU_DEP_2) | instskip(SKIP_1) | instid1(VALU_DEP_3)
	v_add_f64_e32 v[116:117], v[145:146], v[116:117]
	v_mul_f64_e32 v[145:146], s[36:37], v[161:162]
	v_add_f64_e32 v[120:121], v[124:125], v[120:121]
	s_delay_alu instid0(VALU_DEP_2) | instskip(SKIP_1) | instid1(VALU_DEP_2)
	v_fma_f64 v[149:150], v[159:160], s[26:27], v[145:146]
	v_fma_f64 v[128:129], v[159:160], s[26:27], -v[145:146]
	v_add_f64_e32 v[149:150], v[149:150], v[118:119]
	v_fma_f64 v[118:119], v[163:164], s[18:19], -v[153:154]
	s_delay_alu instid0(VALU_DEP_3) | instskip(SKIP_1) | instid1(VALU_DEP_3)
	v_add_f64_e32 v[124:125], v[128:129], v[122:123]
	v_add_f64_e32 v[122:123], v[126:127], v[120:121]
	;; [unrolled: 1-line block ×3, first 2 shown]
	v_fma_f64 v[116:117], v[171:172], s[18:19], v[155:156]
	s_delay_alu instid0(VALU_DEP_4) | instskip(SKIP_1) | instid1(VALU_DEP_1)
	v_add_f64_e32 v[120:121], v[130:131], v[124:125]
	v_and_b32_e32 v124, 0xffff, v232
	v_lshlrev_b32_e32 v124, 4, v124
	s_delay_alu instid0(VALU_DEP_4)
	v_add_f64_e32 v[116:117], v[116:117], v[149:150]
	ds_store_b128 v124, v[100:103] offset:32
	ds_store_b128 v124, v[104:107] offset:48
	;; [unrolled: 1-line block ×11, first 2 shown]
	ds_store_b128 v124, v[0:3]
	ds_store_b128 v124, v[120:123] offset:192
.LBB0_17:
	s_wait_alu 0xfffe
	s_or_b32 exec_lo, exec_lo, s1
	global_wb scope:SCOPE_SE
	s_wait_dscnt 0x0
	s_barrier_signal -1
	s_barrier_wait -1
	global_inv scope:SCOPE_SE
	ds_load_b128 v[0:3], v230 offset:2496
	ds_load_b128 v[84:87], v230 offset:4160
	;; [unrolled: 1-line block ×6, first 2 shown]
	s_mov_b32 s14, 0x134454ff
	s_mov_b32 s15, 0xbfee6f0e
	;; [unrolled: 1-line block ×3, first 2 shown]
	s_wait_alu 0xfffe
	s_mov_b32 s2, s14
	s_mov_b32 s18, 0x4755a5e
	;; [unrolled: 1-line block ×4, first 2 shown]
	s_wait_alu 0xfffe
	s_mov_b32 s10, s18
	s_mov_b32 s16, 0x372fe950
	;; [unrolled: 1-line block ×6, first 2 shown]
	s_wait_alu 0xfffe
	s_mov_b32 s22, s16
	s_mov_b32 s25, 0xbfe9e377
	s_wait_dscnt 0x5
	v_mul_f64_e32 v[104:105], v[26:27], v[0:1]
	s_wait_dscnt 0x4
	v_mul_f64_e32 v[106:107], v[46:47], v[84:85]
	;; [unrolled: 2-line block ×5, first 2 shown]
	v_mul_f64_e32 v[26:27], v[26:27], v[2:3]
	v_mul_f64_e32 v[46:47], v[46:47], v[86:87]
	;; [unrolled: 1-line block ×5, first 2 shown]
	s_mov_b32 s24, s20
	v_fma_f64 v[118:119], v[24:25], v[2:3], -v[104:105]
	v_fma_f64 v[86:87], v[44:45], v[86:87], -v[106:107]
	;; [unrolled: 1-line block ×4, first 2 shown]
	ds_load_b128 v[104:107], v230 offset:3328
	ds_load_b128 v[108:111], v230 offset:4992
	;; [unrolled: 1-line block ×3, first 2 shown]
	s_wait_dscnt 0x3
	v_mul_f64_e32 v[2:3], v[22:23], v[102:103]
	v_mul_f64_e32 v[22:23], v[22:23], v[100:101]
	v_fma_f64 v[24:25], v[24:25], v[0:1], v[26:27]
	v_fma_f64 v[26:27], v[44:45], v[84:85], v[46:47]
	;; [unrolled: 1-line block ×4, first 2 shown]
	v_fma_f64 v[44:45], v[4:5], v[98:99], -v[116:117]
	v_fma_f64 v[4:5], v[4:5], v[96:97], v[6:7]
	s_wait_dscnt 0x2
	v_mul_f64_e32 v[120:121], v[18:19], v[106:107]
	v_mul_f64_e32 v[18:19], v[18:19], v[104:105]
	s_wait_dscnt 0x1
	v_mul_f64_e32 v[122:123], v[14:15], v[110:111]
	s_wait_dscnt 0x0
	v_mul_f64_e32 v[124:125], v[10:11], v[114:115]
	v_mul_f64_e32 v[14:15], v[14:15], v[108:109]
	;; [unrolled: 1-line block ×3, first 2 shown]
	v_add_f64_e32 v[0:1], v[86:87], v[90:91]
	v_add_f64_e32 v[46:47], v[118:119], v[94:95]
	v_fma_f64 v[48:49], v[20:21], v[100:101], v[2:3]
	v_fma_f64 v[20:21], v[20:21], v[102:103], -v[22:23]
	v_add_f64_e64 v[102:103], v[118:119], -v[94:95]
	v_add_f64_e64 v[128:129], v[24:25], -v[26:27]
	v_add_f64_e32 v[6:7], v[26:27], v[40:41]
	v_add_f64_e64 v[84:85], v[26:27], -v[40:41]
	v_add_f64_e64 v[130:131], v[42:43], -v[40:41]
	;; [unrolled: 1-line block ×3, first 2 shown]
	v_fma_f64 v[22:23], v[16:17], v[104:105], v[120:121]
	v_fma_f64 v[16:17], v[16:17], v[106:107], -v[18:19]
	v_fma_f64 v[18:19], v[12:13], v[108:109], v[122:123]
	v_fma_f64 v[50:51], v[8:9], v[112:113], v[124:125]
	v_fma_f64 v[12:13], v[12:13], v[110:111], -v[14:15]
	v_fma_f64 v[8:9], v[8:9], v[114:115], -v[10:11]
	v_add_f64_e32 v[10:11], v[24:25], v[42:43]
	v_add_f64_e64 v[14:15], v[24:25], -v[42:43]
	v_add_f64_e64 v[104:105], v[118:119], -v[86:87]
	;; [unrolled: 1-line block ×6, first 2 shown]
	v_fma_f64 v[88:89], v[0:1], -0.5, v[44:45]
	v_fma_f64 v[46:47], v[46:47], -0.5, v[44:45]
	ds_load_b128 v[0:3], v230
	v_add_f64_e32 v[44:45], v[44:45], v[118:119]
	global_wb scope:SCOPE_SE
	s_wait_dscnt 0x0
	s_barrier_signal -1
	s_barrier_wait -1
	v_fma_f64 v[6:7], v[6:7], -0.5, v[4:5]
	global_inv scope:SCOPE_SE
	v_add_f64_e64 v[135:136], v[20:21], -v[16:17]
	v_add_f64_e32 v[92:93], v[22:23], v[18:19]
	v_add_f64_e32 v[96:97], v[48:49], v[50:51]
	;; [unrolled: 1-line block ×4, first 2 shown]
	v_fma_f64 v[10:11], v[10:11], -0.5, v[4:5]
	v_add_f64_e32 v[120:121], v[0:1], v[48:49]
	v_add_f64_e32 v[126:127], v[2:3], v[20:21]
	;; [unrolled: 1-line block ×3, first 2 shown]
	v_add_f64_e64 v[122:123], v[20:21], -v[8:9]
	v_add_f64_e64 v[124:125], v[16:17], -v[12:13]
	;; [unrolled: 1-line block ×7, first 2 shown]
	v_fma_f64 v[114:115], v[14:15], s[2:3], v[88:89]
	v_fma_f64 v[116:117], v[84:85], s[14:15], v[46:47]
	;; [unrolled: 1-line block ×4, first 2 shown]
	v_add_f64_e32 v[44:45], v[44:45], v[86:87]
	v_fma_f64 v[92:93], v[92:93], -0.5, v[0:1]
	v_fma_f64 v[0:1], v[96:97], -0.5, v[0:1]
	;; [unrolled: 1-line block ×4, first 2 shown]
	v_add_f64_e32 v[100:101], v[104:105], v[106:107]
	v_add_f64_e32 v[104:105], v[108:109], v[110:111]
	v_fma_f64 v[106:107], v[102:103], s[14:15], v[6:7]
	v_fma_f64 v[6:7], v[102:103], s[2:3], v[6:7]
	;; [unrolled: 1-line block ×4, first 2 shown]
	v_add_f64_e64 v[96:97], v[22:23], -v[18:19]
	v_add_f64_e32 v[16:17], v[126:127], v[16:17]
	v_add_f64_e32 v[4:5], v[4:5], v[26:27]
	;; [unrolled: 1-line block ×5, first 2 shown]
	v_fma_f64 v[110:111], v[84:85], s[10:11], v[114:115]
	v_fma_f64 v[114:115], v[14:15], s[10:11], v[116:117]
	;; [unrolled: 1-line block ×4, first 2 shown]
	v_add_f64_e64 v[84:85], v[48:49], -v[22:23]
	v_add_f64_e64 v[48:49], v[22:23], -v[48:49]
	v_add_f64_e32 v[22:23], v[120:121], v[22:23]
	v_add_f64_e64 v[88:89], v[50:51], -v[18:19]
	v_add_f64_e64 v[116:117], v[18:19], -v[50:51]
	v_fma_f64 v[86:87], v[122:123], s[14:15], v[92:93]
	v_fma_f64 v[120:121], v[124:125], s[2:3], v[0:1]
	;; [unrolled: 1-line block ×12, first 2 shown]
	v_add_f64_e32 v[12:13], v[16:17], v[12:13]
	v_add_f64_e32 v[4:5], v[4:5], v[40:41]
	;; [unrolled: 1-line block ×3, first 2 shown]
	v_fma_f64 v[102:103], v[100:101], s[16:17], v[110:111]
	v_fma_f64 v[110:111], v[104:105], s[16:17], v[114:115]
	;; [unrolled: 1-line block ×4, first 2 shown]
	v_add_f64_e32 v[18:19], v[22:23], v[18:19]
	v_add_f64_e32 v[84:85], v[84:85], v[88:89]
	;; [unrolled: 1-line block ×4, first 2 shown]
	v_fma_f64 v[22:23], v[124:125], s[18:19], v[86:87]
	v_fma_f64 v[44:45], v[122:123], s[18:19], v[120:121]
	;; [unrolled: 1-line block ×12, first 2 shown]
	v_add_f64_e32 v[4:5], v[4:5], v[42:43]
	v_add_f64_e32 v[16:17], v[16:17], v[94:95]
	v_mul_f64_e32 v[24:25], s[18:19], v[102:103]
	v_mul_f64_e32 v[102:103], s[20:21], v[102:103]
	v_mul_f64_e32 v[98:99], s[14:15], v[110:111]
	v_mul_f64_e32 v[100:101], s[14:15], v[14:15]
	v_mul_f64_e32 v[106:107], s[16:17], v[110:111]
	s_wait_alu 0xfffe
	v_mul_f64_e32 v[14:15], s[22:23], v[14:15]
	v_mul_f64_e32 v[104:105], s[18:19], v[46:47]
	;; [unrolled: 1-line block ×3, first 2 shown]
	v_add_f64_e32 v[18:19], v[18:19], v[50:51]
	v_add_f64_e32 v[50:51], v[12:13], v[8:9]
	v_fma_f64 v[94:95], v[84:85], s[16:17], v[22:23]
	v_fma_f64 v[108:109], v[48:49], s[16:17], v[44:45]
	;; [unrolled: 1-line block ×16, first 2 shown]
	v_add_f64_e32 v[8:9], v[18:19], v[4:5]
	v_add_f64_e32 v[10:11], v[50:51], v[16:17]
	v_add_f64_e64 v[12:13], v[18:19], -v[4:5]
	v_add_f64_e64 v[14:15], v[50:51], -v[16:17]
	v_add_f64_e32 v[16:17], v[94:95], v[44:45]
	v_add_f64_e32 v[18:19], v[86:87], v[96:97]
	;; [unrolled: 1-line block ×8, first 2 shown]
	v_add_f64_e64 v[44:45], v[94:95], -v[44:45]
	v_add_f64_e64 v[46:47], v[86:87], -v[96:97]
	;; [unrolled: 1-line block ×8, first 2 shown]
	ds_store_b128 v233, v[8:11]
	ds_store_b128 v233, v[16:19] offset:208
	ds_store_b128 v233, v[20:23] offset:416
	;; [unrolled: 1-line block ×9, first 2 shown]
	global_wb scope:SCOPE_SE
	s_wait_dscnt 0x0
	s_barrier_signal -1
	s_barrier_wait -1
	global_inv scope:SCOPE_SE
	ds_load_b128 v[8:11], v230
	ds_load_b128 v[12:15], v230 offset:832
	ds_load_b128 v[40:43], v230 offset:2080
	;; [unrolled: 1-line block ×7, first 2 shown]
	s_and_saveexec_b32 s1, s0
	s_cbranch_execz .LBB0_19
; %bb.18:
	ds_load_b128 v[0:3], v230 offset:1664
	ds_load_b128 v[4:7], v230 offset:3744
	;; [unrolled: 1-line block ×4, first 2 shown]
.LBB0_19:
	s_wait_alu 0xfffe
	s_or_b32 exec_lo, exec_lo, s1
	s_wait_dscnt 0x5
	v_mul_f64_e32 v[84:85], v[70:71], v[42:43]
	v_mul_f64_e32 v[70:71], v[70:71], v[40:41]
	s_wait_dscnt 0x3
	v_mul_f64_e32 v[86:87], v[54:55], v[46:47]
	v_mul_f64_e32 v[54:55], v[54:55], v[44:45]
	;; [unrolled: 3-line block ×3, first 2 shown]
	v_mul_f64_e32 v[90:91], v[62:63], v[18:19]
	v_mul_f64_e32 v[62:63], v[62:63], v[16:17]
	;; [unrolled: 1-line block ×4, first 2 shown]
	s_wait_dscnt 0x0
	v_mul_f64_e32 v[94:95], v[58:59], v[26:27]
	v_mul_f64_e32 v[58:59], v[58:59], v[24:25]
	v_fma_f64 v[40:41], v[68:69], v[40:41], v[84:85]
	v_fma_f64 v[42:43], v[68:69], v[42:43], -v[70:71]
	v_fma_f64 v[44:45], v[52:53], v[44:45], v[86:87]
	v_fma_f64 v[46:47], v[52:53], v[46:47], -v[54:55]
	;; [unrolled: 2-line block ×6, first 2 shown]
	v_add_f64_e64 v[44:45], v[8:9], -v[44:45]
	v_add_f64_e64 v[46:47], v[10:11], -v[46:47]
	;; [unrolled: 1-line block ×8, first 2 shown]
	v_fma_f64 v[56:57], v[8:9], 2.0, -v[44:45]
	v_fma_f64 v[58:59], v[10:11], 2.0, -v[46:47]
	;; [unrolled: 1-line block ×4, first 2 shown]
	v_add_f64_e32 v[8:9], v[44:45], v[50:51]
	v_add_f64_e64 v[10:11], v[46:47], -v[48:49]
	v_fma_f64 v[60:61], v[12:13], 2.0, -v[52:53]
	v_fma_f64 v[62:63], v[14:15], 2.0, -v[54:55]
	;; [unrolled: 1-line block ×4, first 2 shown]
	v_add_f64_e32 v[12:13], v[52:53], v[22:23]
	v_add_f64_e64 v[14:15], v[54:55], -v[20:21]
	v_add_f64_e64 v[16:17], v[56:57], -v[24:25]
	;; [unrolled: 1-line block ×3, first 2 shown]
	v_fma_f64 v[24:25], v[44:45], 2.0, -v[8:9]
	v_fma_f64 v[26:27], v[46:47], 2.0, -v[10:11]
	v_add_f64_e64 v[20:21], v[60:61], -v[40:41]
	v_add_f64_e64 v[22:23], v[62:63], -v[42:43]
	v_fma_f64 v[40:41], v[52:53], 2.0, -v[12:13]
	v_fma_f64 v[42:43], v[54:55], 2.0, -v[14:15]
	;; [unrolled: 1-line block ×6, first 2 shown]
	ds_store_b128 v230, v[24:27] offset:2080
	ds_store_b128 v230, v[40:43] offset:2912
	;; [unrolled: 1-line block ×4, first 2 shown]
	ds_store_b128 v230, v[44:47]
	ds_store_b128 v230, v[48:51] offset:832
	ds_store_b128 v230, v[8:11] offset:6240
	;; [unrolled: 1-line block ×3, first 2 shown]
	s_and_saveexec_b32 s1, s0
	s_cbranch_execz .LBB0_21
; %bb.20:
	v_mul_f64_e32 v[8:9], v[34:35], v[76:77]
	v_mul_f64_e32 v[10:11], v[38:39], v[6:7]
	;; [unrolled: 1-line block ×6, first 2 shown]
	v_fma_f64 v[8:9], v[32:33], v[78:79], -v[8:9]
	v_fma_f64 v[4:5], v[36:37], v[4:5], v[10:11]
	v_fma_f64 v[6:7], v[36:37], v[6:7], -v[12:13]
	v_fma_f64 v[10:11], v[28:29], v[82:83], -v[14:15]
	v_fma_f64 v[12:13], v[32:33], v[76:77], v[16:17]
	v_fma_f64 v[14:15], v[28:29], v[80:81], v[18:19]
	v_add_f64_e64 v[8:9], v[2:3], -v[8:9]
	s_delay_alu instid0(VALU_DEP_4) | instskip(NEXT) | instid1(VALU_DEP_4)
	v_add_f64_e64 v[10:11], v[6:7], -v[10:11]
	v_add_f64_e64 v[16:17], v[0:1], -v[12:13]
	s_delay_alu instid0(VALU_DEP_4) | instskip(NEXT) | instid1(VALU_DEP_4)
	v_add_f64_e64 v[12:13], v[4:5], -v[14:15]
	v_fma_f64 v[14:15], v[2:3], 2.0, -v[8:9]
	s_delay_alu instid0(VALU_DEP_4) | instskip(NEXT) | instid1(VALU_DEP_4)
	v_fma_f64 v[6:7], v[6:7], 2.0, -v[10:11]
	v_fma_f64 v[18:19], v[0:1], 2.0, -v[16:17]
	s_delay_alu instid0(VALU_DEP_4) | instskip(SKIP_1) | instid1(VALU_DEP_4)
	v_fma_f64 v[0:1], v[4:5], 2.0, -v[12:13]
	v_add_f64_e64 v[2:3], v[8:9], -v[12:13]
	v_add_f64_e64 v[6:7], v[14:15], -v[6:7]
	s_delay_alu instid0(VALU_DEP_3) | instskip(SKIP_1) | instid1(VALU_DEP_4)
	v_add_f64_e64 v[4:5], v[18:19], -v[0:1]
	v_add_f64_e32 v[0:1], v[16:17], v[10:11]
	v_fma_f64 v[10:11], v[8:9], 2.0, -v[2:3]
	s_delay_alu instid0(VALU_DEP_4) | instskip(NEXT) | instid1(VALU_DEP_4)
	v_fma_f64 v[14:15], v[14:15], 2.0, -v[6:7]
	v_fma_f64 v[12:13], v[18:19], 2.0, -v[4:5]
	s_delay_alu instid0(VALU_DEP_4)
	v_fma_f64 v[8:9], v[16:17], 2.0, -v[0:1]
	ds_store_b128 v230, v[12:15] offset:1664
	ds_store_b128 v230, v[8:11] offset:3744
	;; [unrolled: 1-line block ×4, first 2 shown]
.LBB0_21:
	s_wait_alu 0xfffe
	s_or_b32 exec_lo, exec_lo, s1
	global_wb scope:SCOPE_SE
	s_wait_dscnt 0x0
	s_barrier_signal -1
	s_barrier_wait -1
	global_inv scope:SCOPE_SE
	s_and_b32 exec_lo, exec_lo, vcc_lo
	s_cbranch_execz .LBB0_23
; %bb.22:
	s_clause 0xc
	global_load_b128 v[0:3], v230, s[12:13]
	global_load_b128 v[4:7], v230, s[12:13] offset:640
	global_load_b128 v[8:11], v230, s[12:13] offset:1280
	;; [unrolled: 1-line block ×12, first 2 shown]
	v_mad_co_u64_u32 v[60:61], null, s4, v231, 0
	v_mad_co_u64_u32 v[52:53], null, s6, v132, 0
	s_mul_u64 s[0:1], s[4:5], 0x280
	s_mov_b32 s2, 0x1f81f820
	s_mov_b32 s3, 0x3f5f81f8
	s_delay_alu instid0(VALU_DEP_2) | instskip(NEXT) | instid1(VALU_DEP_1)
	v_mov_b32_e32 v54, v61
	v_mad_co_u64_u32 v[55:56], null, s7, v132, v[53:54]
	s_delay_alu instid0(VALU_DEP_1) | instskip(SKIP_1) | instid1(VALU_DEP_2)
	v_mov_b32_e32 v53, v55
	v_mad_co_u64_u32 v[56:57], null, s5, v231, v[54:55]
	v_lshlrev_b64_e32 v[62:63], 4, v[52:53]
	s_delay_alu instid0(VALU_DEP_2)
	v_mov_b32_e32 v61, v56
	ds_load_b128 v[52:55], v230
	ds_load_b128 v[56:59], v230 offset:640
	v_add_co_u32 v148, vcc_lo, s8, v62
	v_add_co_ci_u32_e32 v149, vcc_lo, s9, v63, vcc_lo
	v_lshlrev_b64_e32 v[68:69], 4, v[60:61]
	ds_load_b128 v[60:63], v230 offset:1280
	ds_load_b128 v[64:67], v230 offset:1920
	v_add_co_u32 v104, vcc_lo, v148, v68
	s_wait_alu 0xfffd
	v_add_co_ci_u32_e32 v105, vcc_lo, v149, v69, vcc_lo
	ds_load_b128 v[68:71], v230 offset:2560
	ds_load_b128 v[72:75], v230 offset:3200
	;; [unrolled: 1-line block ×9, first 2 shown]
	s_wait_alu 0xfffe
	v_add_co_u32 v106, vcc_lo, v104, s0
	s_wait_alu 0xfffd
	v_add_co_ci_u32_e32 v107, vcc_lo, s1, v105, vcc_lo
	s_delay_alu instid0(VALU_DEP_2) | instskip(SKIP_1) | instid1(VALU_DEP_2)
	v_add_co_u32 v108, vcc_lo, v106, s0
	s_wait_alu 0xfffd
	v_add_co_ci_u32_e32 v109, vcc_lo, s1, v107, vcc_lo
	s_delay_alu instid0(VALU_DEP_2) | instskip(SKIP_1) | instid1(VALU_DEP_2)
	;; [unrolled: 4-line block ×6, first 2 shown]
	v_add_co_u32 v144, vcc_lo, v142, s0
	s_wait_alu 0xfffd
	v_add_co_ci_u32_e32 v145, vcc_lo, s1, v143, vcc_lo
	s_delay_alu instid0(VALU_DEP_1)
	v_mad_co_u64_u32 v[146:147], null, 0x500, s4, v[144:145]
	s_wait_loadcnt_dscnt 0xc0c
	v_mul_f64_e32 v[116:117], v[54:55], v[2:3]
	v_mul_f64_e32 v[2:3], v[52:53], v[2:3]
	s_wait_loadcnt_dscnt 0xb0b
	v_mul_f64_e32 v[118:119], v[58:59], v[6:7]
	v_mul_f64_e32 v[6:7], v[56:57], v[6:7]
	;; [unrolled: 3-line block ×13, first 2 shown]
	v_fma_f64 v[52:53], v[52:53], v[0:1], v[116:117]
	v_fma_f64 v[2:3], v[0:1], v[54:55], -v[2:3]
	v_mov_b32_e32 v0, v147
	v_fma_f64 v[54:55], v[56:57], v[4:5], v[118:119]
	v_fma_f64 v[6:7], v[4:5], v[58:59], -v[6:7]
	v_fma_f64 v[56:57], v[60:61], v[8:9], v[120:121]
	v_fma_f64 v[10:11], v[8:9], v[62:63], -v[10:11]
	;; [unrolled: 2-line block ×12, first 2 shown]
	v_mad_co_u64_u32 v[80:81], null, 0x500, s5, v[0:1]
	v_mad_co_u64_u32 v[78:79], null, s4, v229, 0
	s_delay_alu instid0(VALU_DEP_2) | instskip(SKIP_2) | instid1(VALU_DEP_4)
	v_mov_b32_e32 v147, v80
	v_mul_f64_e32 v[0:1], s[2:3], v[52:53]
	v_mul_f64_e32 v[2:3], s[2:3], v[2:3]
	v_mad_co_u64_u32 v[52:53], null, s5, v229, v[79:80]
	v_mul_f64_e32 v[4:5], s[2:3], v[54:55]
	v_mul_f64_e32 v[6:7], s[2:3], v[6:7]
	;; [unrolled: 1-line block ×24, first 2 shown]
	v_mov_b32_e32 v79, v52
	v_add_co_u32 v52, vcc_lo, v146, s0
	s_wait_alu 0xfffd
	v_add_co_ci_u32_e32 v53, vcc_lo, s1, v147, vcc_lo
	s_delay_alu instid0(VALU_DEP_3) | instskip(NEXT) | instid1(VALU_DEP_3)
	v_lshlrev_b64_e32 v[54:55], 4, v[78:79]
	v_add_co_u32 v56, vcc_lo, v52, s0
	s_wait_alu 0xfffd
	s_delay_alu instid0(VALU_DEP_3) | instskip(NEXT) | instid1(VALU_DEP_3)
	v_add_co_ci_u32_e32 v57, vcc_lo, s1, v53, vcc_lo
	v_add_co_u32 v54, vcc_lo, v148, v54
	s_wait_alu 0xfffd
	v_add_co_ci_u32_e32 v55, vcc_lo, v149, v55, vcc_lo
	v_add_co_u32 v58, vcc_lo, v56, s0
	s_wait_alu 0xfffd
	v_add_co_ci_u32_e32 v59, vcc_lo, s1, v57, vcc_lo
	s_clause 0x4
	global_store_b128 v[104:105], v[0:3], off
	global_store_b128 v[106:107], v[4:7], off
	;; [unrolled: 1-line block ×13, first 2 shown]
.LBB0_23:
	s_nop 0
	s_sendmsg sendmsg(MSG_DEALLOC_VGPRS)
	s_endpgm
	.section	.rodata,"a",@progbits
	.p2align	6, 0x0
	.amdhsa_kernel bluestein_single_fwd_len520_dim1_dp_op_CI_CI
		.amdhsa_group_segment_fixed_size 8320
		.amdhsa_private_segment_fixed_size 0
		.amdhsa_kernarg_size 104
		.amdhsa_user_sgpr_count 2
		.amdhsa_user_sgpr_dispatch_ptr 0
		.amdhsa_user_sgpr_queue_ptr 0
		.amdhsa_user_sgpr_kernarg_segment_ptr 1
		.amdhsa_user_sgpr_dispatch_id 0
		.amdhsa_user_sgpr_private_segment_size 0
		.amdhsa_wavefront_size32 1
		.amdhsa_uses_dynamic_stack 0
		.amdhsa_enable_private_segment 0
		.amdhsa_system_sgpr_workgroup_id_x 1
		.amdhsa_system_sgpr_workgroup_id_y 0
		.amdhsa_system_sgpr_workgroup_id_z 0
		.amdhsa_system_sgpr_workgroup_info 0
		.amdhsa_system_vgpr_workitem_id 0
		.amdhsa_next_free_vgpr 255
		.amdhsa_next_free_sgpr 46
		.amdhsa_reserve_vcc 1
		.amdhsa_float_round_mode_32 0
		.amdhsa_float_round_mode_16_64 0
		.amdhsa_float_denorm_mode_32 3
		.amdhsa_float_denorm_mode_16_64 3
		.amdhsa_fp16_overflow 0
		.amdhsa_workgroup_processor_mode 1
		.amdhsa_memory_ordered 1
		.amdhsa_forward_progress 0
		.amdhsa_round_robin_scheduling 0
		.amdhsa_exception_fp_ieee_invalid_op 0
		.amdhsa_exception_fp_denorm_src 0
		.amdhsa_exception_fp_ieee_div_zero 0
		.amdhsa_exception_fp_ieee_overflow 0
		.amdhsa_exception_fp_ieee_underflow 0
		.amdhsa_exception_fp_ieee_inexact 0
		.amdhsa_exception_int_div_zero 0
	.end_amdhsa_kernel
	.text
.Lfunc_end0:
	.size	bluestein_single_fwd_len520_dim1_dp_op_CI_CI, .Lfunc_end0-bluestein_single_fwd_len520_dim1_dp_op_CI_CI
                                        ; -- End function
	.section	.AMDGPU.csdata,"",@progbits
; Kernel info:
; codeLenInByte = 15004
; NumSgprs: 48
; NumVgprs: 255
; ScratchSize: 0
; MemoryBound: 0
; FloatMode: 240
; IeeeMode: 1
; LDSByteSize: 8320 bytes/workgroup (compile time only)
; SGPRBlocks: 5
; VGPRBlocks: 31
; NumSGPRsForWavesPerEU: 48
; NumVGPRsForWavesPerEU: 255
; Occupancy: 5
; WaveLimiterHint : 1
; COMPUTE_PGM_RSRC2:SCRATCH_EN: 0
; COMPUTE_PGM_RSRC2:USER_SGPR: 2
; COMPUTE_PGM_RSRC2:TRAP_HANDLER: 0
; COMPUTE_PGM_RSRC2:TGID_X_EN: 1
; COMPUTE_PGM_RSRC2:TGID_Y_EN: 0
; COMPUTE_PGM_RSRC2:TGID_Z_EN: 0
; COMPUTE_PGM_RSRC2:TIDIG_COMP_CNT: 0
	.text
	.p2alignl 7, 3214868480
	.fill 96, 4, 3214868480
	.type	__hip_cuid_ae337d5816fce7fc,@object ; @__hip_cuid_ae337d5816fce7fc
	.section	.bss,"aw",@nobits
	.globl	__hip_cuid_ae337d5816fce7fc
__hip_cuid_ae337d5816fce7fc:
	.byte	0                               ; 0x0
	.size	__hip_cuid_ae337d5816fce7fc, 1

	.ident	"AMD clang version 19.0.0git (https://github.com/RadeonOpenCompute/llvm-project roc-6.4.0 25133 c7fe45cf4b819c5991fe208aaa96edf142730f1d)"
	.section	".note.GNU-stack","",@progbits
	.addrsig
	.addrsig_sym __hip_cuid_ae337d5816fce7fc
	.amdgpu_metadata
---
amdhsa.kernels:
  - .args:
      - .actual_access:  read_only
        .address_space:  global
        .offset:         0
        .size:           8
        .value_kind:     global_buffer
      - .actual_access:  read_only
        .address_space:  global
        .offset:         8
        .size:           8
        .value_kind:     global_buffer
      - .actual_access:  read_only
        .address_space:  global
        .offset:         16
        .size:           8
        .value_kind:     global_buffer
      - .actual_access:  read_only
        .address_space:  global
        .offset:         24
        .size:           8
        .value_kind:     global_buffer
      - .actual_access:  read_only
        .address_space:  global
        .offset:         32
        .size:           8
        .value_kind:     global_buffer
      - .offset:         40
        .size:           8
        .value_kind:     by_value
      - .address_space:  global
        .offset:         48
        .size:           8
        .value_kind:     global_buffer
      - .address_space:  global
        .offset:         56
        .size:           8
        .value_kind:     global_buffer
      - .address_space:  global
        .offset:         64
        .size:           8
        .value_kind:     global_buffer
      - .address_space:  global
        .offset:         72
        .size:           8
        .value_kind:     global_buffer
      - .offset:         80
        .size:           4
        .value_kind:     by_value
      - .address_space:  global
        .offset:         88
        .size:           8
        .value_kind:     global_buffer
      - .address_space:  global
        .offset:         96
        .size:           8
        .value_kind:     global_buffer
    .group_segment_fixed_size: 8320
    .kernarg_segment_align: 8
    .kernarg_segment_size: 104
    .language:       OpenCL C
    .language_version:
      - 2
      - 0
    .max_flat_workgroup_size: 52
    .name:           bluestein_single_fwd_len520_dim1_dp_op_CI_CI
    .private_segment_fixed_size: 0
    .sgpr_count:     48
    .sgpr_spill_count: 0
    .symbol:         bluestein_single_fwd_len520_dim1_dp_op_CI_CI.kd
    .uniform_work_group_size: 1
    .uses_dynamic_stack: false
    .vgpr_count:     255
    .vgpr_spill_count: 0
    .wavefront_size: 32
    .workgroup_processor_mode: 1
amdhsa.target:   amdgcn-amd-amdhsa--gfx1201
amdhsa.version:
  - 1
  - 2
...

	.end_amdgpu_metadata
